;; amdgpu-corpus repo=ROCm/rocFFT kind=compiled arch=gfx1201 opt=O3
	.text
	.amdgcn_target "amdgcn-amd-amdhsa--gfx1201"
	.amdhsa_code_object_version 6
	.protected	fft_rtc_fwd_len1925_factors_7_11_5_5_wgs_55_tpt_55_halfLds_half_ip_CI_unitstride_sbrr_dirReg ; -- Begin function fft_rtc_fwd_len1925_factors_7_11_5_5_wgs_55_tpt_55_halfLds_half_ip_CI_unitstride_sbrr_dirReg
	.globl	fft_rtc_fwd_len1925_factors_7_11_5_5_wgs_55_tpt_55_halfLds_half_ip_CI_unitstride_sbrr_dirReg
	.p2align	8
	.type	fft_rtc_fwd_len1925_factors_7_11_5_5_wgs_55_tpt_55_halfLds_half_ip_CI_unitstride_sbrr_dirReg,@function
fft_rtc_fwd_len1925_factors_7_11_5_5_wgs_55_tpt_55_halfLds_half_ip_CI_unitstride_sbrr_dirReg: ; @fft_rtc_fwd_len1925_factors_7_11_5_5_wgs_55_tpt_55_halfLds_half_ip_CI_unitstride_sbrr_dirReg
; %bb.0:
	s_clause 0x2
	s_load_b128 s[4:7], s[0:1], 0x0
	s_load_b64 s[8:9], s[0:1], 0x50
	s_load_b64 s[10:11], s[0:1], 0x18
	v_mul_u32_u24_e32 v1, 0x4a8, v0
	v_mov_b32_e32 v3, 0
	s_delay_alu instid0(VALU_DEP_2) | instskip(NEXT) | instid1(VALU_DEP_1)
	v_lshrrev_b32_e32 v1, 16, v1
	v_add_nc_u32_e32 v5, ttmp9, v1
	v_mov_b32_e32 v1, 0
	v_mov_b32_e32 v2, 0
	;; [unrolled: 1-line block ×3, first 2 shown]
	s_wait_kmcnt 0x0
	v_cmp_lt_u64_e64 s2, s[6:7], 2
	s_delay_alu instid0(VALU_DEP_1)
	s_and_b32 vcc_lo, exec_lo, s2
	s_cbranch_vccnz .LBB0_8
; %bb.1:
	s_load_b64 s[2:3], s[0:1], 0x10
	v_mov_b32_e32 v1, 0
	v_mov_b32_e32 v2, 0
	s_add_nc_u64 s[12:13], s[10:11], 8
	s_mov_b64 s[14:15], 1
	s_wait_kmcnt 0x0
	s_add_nc_u64 s[16:17], s[2:3], 8
	s_mov_b32 s3, 0
.LBB0_2:                                ; =>This Inner Loop Header: Depth=1
	s_load_b64 s[18:19], s[16:17], 0x0
                                        ; implicit-def: $vgpr7_vgpr8
	s_mov_b32 s2, exec_lo
	s_wait_kmcnt 0x0
	v_or_b32_e32 v4, s19, v6
	s_delay_alu instid0(VALU_DEP_1)
	v_cmpx_ne_u64_e32 0, v[3:4]
	s_wait_alu 0xfffe
	s_xor_b32 s20, exec_lo, s2
	s_cbranch_execz .LBB0_4
; %bb.3:                                ;   in Loop: Header=BB0_2 Depth=1
	s_cvt_f32_u32 s2, s18
	s_cvt_f32_u32 s21, s19
	s_sub_nc_u64 s[24:25], 0, s[18:19]
	s_wait_alu 0xfffe
	s_delay_alu instid0(SALU_CYCLE_1) | instskip(SKIP_1) | instid1(SALU_CYCLE_2)
	s_fmamk_f32 s2, s21, 0x4f800000, s2
	s_wait_alu 0xfffe
	v_s_rcp_f32 s2, s2
	s_delay_alu instid0(TRANS32_DEP_1) | instskip(SKIP_1) | instid1(SALU_CYCLE_2)
	s_mul_f32 s2, s2, 0x5f7ffffc
	s_wait_alu 0xfffe
	s_mul_f32 s21, s2, 0x2f800000
	s_wait_alu 0xfffe
	s_delay_alu instid0(SALU_CYCLE_2) | instskip(SKIP_1) | instid1(SALU_CYCLE_2)
	s_trunc_f32 s21, s21
	s_wait_alu 0xfffe
	s_fmamk_f32 s2, s21, 0xcf800000, s2
	s_cvt_u32_f32 s23, s21
	s_wait_alu 0xfffe
	s_delay_alu instid0(SALU_CYCLE_1) | instskip(SKIP_1) | instid1(SALU_CYCLE_2)
	s_cvt_u32_f32 s22, s2
	s_wait_alu 0xfffe
	s_mul_u64 s[26:27], s[24:25], s[22:23]
	s_wait_alu 0xfffe
	s_mul_hi_u32 s29, s22, s27
	s_mul_i32 s28, s22, s27
	s_mul_hi_u32 s2, s22, s26
	s_mul_i32 s30, s23, s26
	s_wait_alu 0xfffe
	s_add_nc_u64 s[28:29], s[2:3], s[28:29]
	s_mul_hi_u32 s21, s23, s26
	s_mul_hi_u32 s31, s23, s27
	s_add_co_u32 s2, s28, s30
	s_wait_alu 0xfffe
	s_add_co_ci_u32 s2, s29, s21
	s_mul_i32 s26, s23, s27
	s_add_co_ci_u32 s27, s31, 0
	s_wait_alu 0xfffe
	s_add_nc_u64 s[26:27], s[2:3], s[26:27]
	s_wait_alu 0xfffe
	v_add_co_u32 v4, s2, s22, s26
	s_delay_alu instid0(VALU_DEP_1) | instskip(SKIP_1) | instid1(VALU_DEP_1)
	s_cmp_lg_u32 s2, 0
	s_add_co_ci_u32 s23, s23, s27
	v_readfirstlane_b32 s22, v4
	s_wait_alu 0xfffe
	s_delay_alu instid0(VALU_DEP_1)
	s_mul_u64 s[24:25], s[24:25], s[22:23]
	s_wait_alu 0xfffe
	s_mul_hi_u32 s27, s22, s25
	s_mul_i32 s26, s22, s25
	s_mul_hi_u32 s2, s22, s24
	s_mul_i32 s28, s23, s24
	s_wait_alu 0xfffe
	s_add_nc_u64 s[26:27], s[2:3], s[26:27]
	s_mul_hi_u32 s21, s23, s24
	s_mul_hi_u32 s22, s23, s25
	s_wait_alu 0xfffe
	s_add_co_u32 s2, s26, s28
	s_add_co_ci_u32 s2, s27, s21
	s_mul_i32 s24, s23, s25
	s_add_co_ci_u32 s25, s22, 0
	s_wait_alu 0xfffe
	s_add_nc_u64 s[24:25], s[2:3], s[24:25]
	s_wait_alu 0xfffe
	v_add_co_u32 v4, s2, v4, s24
	s_delay_alu instid0(VALU_DEP_1) | instskip(SKIP_1) | instid1(VALU_DEP_1)
	s_cmp_lg_u32 s2, 0
	s_add_co_ci_u32 s2, s23, s25
	v_mul_hi_u32 v13, v5, v4
	s_wait_alu 0xfffe
	v_mad_co_u64_u32 v[7:8], null, v5, s2, 0
	v_mad_co_u64_u32 v[9:10], null, v6, v4, 0
	;; [unrolled: 1-line block ×3, first 2 shown]
	s_delay_alu instid0(VALU_DEP_3) | instskip(SKIP_1) | instid1(VALU_DEP_4)
	v_add_co_u32 v4, vcc_lo, v13, v7
	s_wait_alu 0xfffd
	v_add_co_ci_u32_e32 v7, vcc_lo, 0, v8, vcc_lo
	s_delay_alu instid0(VALU_DEP_2) | instskip(SKIP_1) | instid1(VALU_DEP_2)
	v_add_co_u32 v4, vcc_lo, v4, v9
	s_wait_alu 0xfffd
	v_add_co_ci_u32_e32 v4, vcc_lo, v7, v10, vcc_lo
	s_wait_alu 0xfffd
	v_add_co_ci_u32_e32 v7, vcc_lo, 0, v12, vcc_lo
	s_delay_alu instid0(VALU_DEP_2) | instskip(SKIP_1) | instid1(VALU_DEP_2)
	v_add_co_u32 v4, vcc_lo, v4, v11
	s_wait_alu 0xfffd
	v_add_co_ci_u32_e32 v9, vcc_lo, 0, v7, vcc_lo
	s_delay_alu instid0(VALU_DEP_2) | instskip(SKIP_1) | instid1(VALU_DEP_3)
	v_mul_lo_u32 v10, s19, v4
	v_mad_co_u64_u32 v[7:8], null, s18, v4, 0
	v_mul_lo_u32 v11, s18, v9
	s_delay_alu instid0(VALU_DEP_2) | instskip(NEXT) | instid1(VALU_DEP_2)
	v_sub_co_u32 v7, vcc_lo, v5, v7
	v_add3_u32 v8, v8, v11, v10
	s_delay_alu instid0(VALU_DEP_1) | instskip(SKIP_1) | instid1(VALU_DEP_1)
	v_sub_nc_u32_e32 v10, v6, v8
	s_wait_alu 0xfffd
	v_subrev_co_ci_u32_e64 v10, s2, s19, v10, vcc_lo
	v_add_co_u32 v11, s2, v4, 2
	s_wait_alu 0xf1ff
	v_add_co_ci_u32_e64 v12, s2, 0, v9, s2
	v_sub_co_u32 v13, s2, v7, s18
	v_sub_co_ci_u32_e32 v8, vcc_lo, v6, v8, vcc_lo
	s_wait_alu 0xf1ff
	v_subrev_co_ci_u32_e64 v10, s2, 0, v10, s2
	s_delay_alu instid0(VALU_DEP_3) | instskip(NEXT) | instid1(VALU_DEP_3)
	v_cmp_le_u32_e32 vcc_lo, s18, v13
	v_cmp_eq_u32_e64 s2, s19, v8
	s_wait_alu 0xfffd
	v_cndmask_b32_e64 v13, 0, -1, vcc_lo
	v_cmp_le_u32_e32 vcc_lo, s19, v10
	s_wait_alu 0xfffd
	v_cndmask_b32_e64 v14, 0, -1, vcc_lo
	v_cmp_le_u32_e32 vcc_lo, s18, v7
	;; [unrolled: 3-line block ×3, first 2 shown]
	s_wait_alu 0xfffd
	v_cndmask_b32_e64 v15, 0, -1, vcc_lo
	v_cmp_eq_u32_e32 vcc_lo, s19, v10
	s_wait_alu 0xf1ff
	s_delay_alu instid0(VALU_DEP_2)
	v_cndmask_b32_e64 v7, v15, v7, s2
	s_wait_alu 0xfffd
	v_cndmask_b32_e32 v10, v14, v13, vcc_lo
	v_add_co_u32 v13, vcc_lo, v4, 1
	s_wait_alu 0xfffd
	v_add_co_ci_u32_e32 v14, vcc_lo, 0, v9, vcc_lo
	s_delay_alu instid0(VALU_DEP_3) | instskip(SKIP_2) | instid1(VALU_DEP_3)
	v_cmp_ne_u32_e32 vcc_lo, 0, v10
	s_wait_alu 0xfffd
	v_cndmask_b32_e32 v10, v13, v11, vcc_lo
	v_cndmask_b32_e32 v8, v14, v12, vcc_lo
	v_cmp_ne_u32_e32 vcc_lo, 0, v7
	s_wait_alu 0xfffd
	s_delay_alu instid0(VALU_DEP_2)
	v_dual_cndmask_b32 v7, v4, v10 :: v_dual_cndmask_b32 v8, v9, v8
.LBB0_4:                                ;   in Loop: Header=BB0_2 Depth=1
	s_wait_alu 0xfffe
	s_and_not1_saveexec_b32 s2, s20
	s_cbranch_execz .LBB0_6
; %bb.5:                                ;   in Loop: Header=BB0_2 Depth=1
	v_cvt_f32_u32_e32 v4, s18
	s_sub_co_i32 s20, 0, s18
	s_delay_alu instid0(VALU_DEP_1) | instskip(NEXT) | instid1(TRANS32_DEP_1)
	v_rcp_iflag_f32_e32 v4, v4
	v_mul_f32_e32 v4, 0x4f7ffffe, v4
	s_delay_alu instid0(VALU_DEP_1) | instskip(SKIP_1) | instid1(VALU_DEP_1)
	v_cvt_u32_f32_e32 v4, v4
	s_wait_alu 0xfffe
	v_mul_lo_u32 v7, s20, v4
	s_delay_alu instid0(VALU_DEP_1) | instskip(NEXT) | instid1(VALU_DEP_1)
	v_mul_hi_u32 v7, v4, v7
	v_add_nc_u32_e32 v4, v4, v7
	s_delay_alu instid0(VALU_DEP_1) | instskip(NEXT) | instid1(VALU_DEP_1)
	v_mul_hi_u32 v4, v5, v4
	v_mul_lo_u32 v7, v4, s18
	v_add_nc_u32_e32 v8, 1, v4
	s_delay_alu instid0(VALU_DEP_2) | instskip(NEXT) | instid1(VALU_DEP_1)
	v_sub_nc_u32_e32 v7, v5, v7
	v_subrev_nc_u32_e32 v9, s18, v7
	v_cmp_le_u32_e32 vcc_lo, s18, v7
	s_wait_alu 0xfffd
	s_delay_alu instid0(VALU_DEP_2) | instskip(NEXT) | instid1(VALU_DEP_1)
	v_dual_cndmask_b32 v7, v7, v9 :: v_dual_cndmask_b32 v4, v4, v8
	v_cmp_le_u32_e32 vcc_lo, s18, v7
	s_delay_alu instid0(VALU_DEP_2) | instskip(SKIP_1) | instid1(VALU_DEP_1)
	v_add_nc_u32_e32 v8, 1, v4
	s_wait_alu 0xfffd
	v_dual_cndmask_b32 v7, v4, v8 :: v_dual_mov_b32 v8, v3
.LBB0_6:                                ;   in Loop: Header=BB0_2 Depth=1
	s_wait_alu 0xfffe
	s_or_b32 exec_lo, exec_lo, s2
	s_load_b64 s[20:21], s[12:13], 0x0
	s_delay_alu instid0(VALU_DEP_1)
	v_mul_lo_u32 v4, v8, s18
	v_mul_lo_u32 v11, v7, s19
	v_mad_co_u64_u32 v[9:10], null, v7, s18, 0
	s_add_nc_u64 s[14:15], s[14:15], 1
	s_add_nc_u64 s[12:13], s[12:13], 8
	s_wait_alu 0xfffe
	v_cmp_ge_u64_e64 s2, s[14:15], s[6:7]
	s_add_nc_u64 s[16:17], s[16:17], 8
	s_delay_alu instid0(VALU_DEP_2) | instskip(NEXT) | instid1(VALU_DEP_3)
	v_add3_u32 v4, v10, v11, v4
	v_sub_co_u32 v5, vcc_lo, v5, v9
	s_wait_alu 0xfffd
	s_delay_alu instid0(VALU_DEP_2) | instskip(SKIP_3) | instid1(VALU_DEP_2)
	v_sub_co_ci_u32_e32 v4, vcc_lo, v6, v4, vcc_lo
	s_and_b32 vcc_lo, exec_lo, s2
	s_wait_kmcnt 0x0
	v_mul_lo_u32 v6, s21, v5
	v_mul_lo_u32 v4, s20, v4
	v_mad_co_u64_u32 v[1:2], null, s20, v5, v[1:2]
	s_delay_alu instid0(VALU_DEP_1)
	v_add3_u32 v2, v6, v2, v4
	s_wait_alu 0xfffe
	s_cbranch_vccnz .LBB0_9
; %bb.7:                                ;   in Loop: Header=BB0_2 Depth=1
	v_dual_mov_b32 v5, v7 :: v_dual_mov_b32 v6, v8
	s_branch .LBB0_2
.LBB0_8:
	v_dual_mov_b32 v8, v6 :: v_dual_mov_b32 v7, v5
.LBB0_9:
	s_lshl_b64 s[2:3], s[6:7], 3
	v_mul_hi_u32 v3, 0x4a7904b, v0
	s_wait_alu 0xfffe
	s_add_nc_u64 s[2:3], s[10:11], s[2:3]
	v_dual_mov_b32 v53, 0 :: v_dual_mov_b32 v50, 0
	s_load_b64 s[2:3], s[2:3], 0x0
	s_load_b64 s[0:1], s[0:1], 0x20
	v_dual_mov_b32 v28, 0 :: v_dual_mov_b32 v51, 0
	v_dual_mov_b32 v47, 0 :: v_dual_mov_b32 v48, 0
	v_mul_u32_u24_e32 v3, 55, v3
	v_dual_mov_b32 v49, 0 :: v_dual_mov_b32 v46, 0
	v_dual_mov_b32 v54, 0 :: v_dual_mov_b32 v17, 0
	;; [unrolled: 1-line block ×6, first 2 shown]
	v_sub_nc_u32_e32 v20, v0, v3
	s_wait_kmcnt 0x0
	v_mul_lo_u32 v4, s2, v8
	v_mul_lo_u32 v6, s3, v7
	v_mad_co_u64_u32 v[1:2], null, s2, v7, v[1:2]
	v_cmp_gt_u64_e32 vcc_lo, s[0:1], v[7:8]
                                        ; implicit-def: $vgpr67
                                        ; implicit-def: $vgpr66
                                        ; implicit-def: $vgpr52
                                        ; implicit-def: $vgpr64
                                        ; implicit-def: $vgpr60
                                        ; implicit-def: $vgpr62
                                        ; implicit-def: $vgpr59
                                        ; implicit-def: $vgpr58
                                        ; implicit-def: $vgpr68
                                        ; implicit-def: $vgpr61
                                        ; implicit-def: $vgpr65
                                        ; implicit-def: $vgpr69
                                        ; implicit-def: $vgpr55
                                        ; implicit-def: $vgpr56
                                        ; implicit-def: $vgpr12
                                        ; implicit-def: $vgpr13
                                        ; implicit-def: $vgpr3
                                        ; implicit-def: $vgpr0
	s_delay_alu instid0(VALU_DEP_2) | instskip(SKIP_2) | instid1(VALU_DEP_3)
	v_add3_u32 v2, v6, v2, v4
	v_mov_b32_e32 v4, 0
	v_mov_b32_e32 v6, 0
	v_lshlrev_b64_e32 v[22:23], 2, v[1:2]
                                        ; implicit-def: $vgpr2
                                        ; implicit-def: $vgpr1
	s_and_saveexec_b32 s1, vcc_lo
	s_cbranch_execz .LBB0_11
; %bb.10:
	v_mov_b32_e32 v21, 0
	s_delay_alu instid0(VALU_DEP_2) | instskip(SKIP_2) | instid1(VALU_DEP_3)
	v_add_co_u32 v2, s0, s8, v22
	s_wait_alu 0xf1ff
	v_add_co_ci_u32_e64 v3, s0, s9, v23, s0
	v_lshlrev_b64_e32 v[0:1], 2, v[20:21]
	s_delay_alu instid0(VALU_DEP_1) | instskip(SKIP_1) | instid1(VALU_DEP_2)
	v_add_co_u32 v0, s0, v2, v0
	s_wait_alu 0xf1ff
	v_add_co_ci_u32_e64 v1, s0, v3, v1, s0
	s_clause 0x1f
	global_load_b32 v2, v[0:1], off offset:3300
	global_load_b32 v52, v[0:1], off offset:6820
	;; [unrolled: 1-line block ×5, first 2 shown]
	global_load_b32 v50, v[0:1], off
	global_load_b32 v51, v[0:1], off offset:220
	global_load_b32 v48, v[0:1], off offset:440
	;; [unrolled: 1-line block ×26, first 2 shown]
	s_clause 0x2
	global_load_b32 v17, v[0:1], off offset:2200
	global_load_b32 v54, v[0:1], off offset:1980
	;; [unrolled: 1-line block ×3, first 2 shown]
	s_wait_loadcnt 0x15
	v_lshrrev_b32_e32 v67, 16, v3
	s_wait_loadcnt 0x14
	v_lshrrev_b32_e32 v66, 16, v7
	;; [unrolled: 2-line block ×4, first 2 shown]
	v_perm_b32 v65, v3, v2, 0x5040100
	s_wait_loadcnt 0x10
	v_lshrrev_b32_e32 v62, 16, v21
	v_perm_b32 v69, v61, v2, 0x7060302
	s_wait_loadcnt 0xf
	v_perm_b32 v55, v7, v12, 0x5040100
	v_perm_b32 v56, v52, v12, 0x7060302
	s_wait_loadcnt 0xe
	v_perm_b32 v12, v8, v13, 0x5040100
	;; [unrolled: 3-line block ×3, first 2 shown]
	s_wait_loadcnt 0x8
	v_perm_b32 v0, v21, v25, 0x5040100
	s_wait_loadcnt 0x7
	v_perm_b32 v3, v60, v24, 0x7060302
	;; [unrolled: 2-line block ×3, first 2 shown]
.LBB0_11:
	s_wait_alu 0xfffe
	s_or_b32 exec_lo, exec_lo, s1
	s_wait_loadcnt 0x2
	v_lshrrev_b32_e32 v71, 16, v17
	v_perm_b32 v70, v17, v16, 0x5040100
	v_perm_b32 v74, v53, v16, 0x7060302
	v_add_f16_e32 v7, v61, v53
	v_perm_b32 v77, v5, v15, 0x5040100
	v_sub_f16_e32 v17, v71, v67
	v_pk_add_f16 v24, v65, v70
	v_pk_add_f16 v29, v74, v69 neg_lo:[0,1] neg_hi:[0,1]
	v_lshrrev_b32_e32 v72, 16, v5
	v_perm_b32 v78, v28, v15, 0x7060302
	v_add_f16_e32 v8, v52, v28
	v_lshrrev_b32_e32 v16, 16, v24
	v_alignbit_b32 v31, v7, v24, 16
	v_pack_b32_f16 v32, v17, v29
	v_add_f16_e32 v33, v17, v29
	v_lshrrev_b32_e32 v34, 16, v29
	v_add_f16_e32 v16, v7, v16
	v_sub_f16_e32 v7, v7, v24
	v_pk_add_f16 v31, v24, v31 neg_lo:[0,1] neg_hi:[0,1]
	v_pk_add_f16 v29, v29, v32 neg_lo:[0,1] neg_hi:[0,1]
	v_sub_f16_e32 v17, v17, v34
	v_add_f16_e32 v16, v16, v24
	v_mul_f16_e32 v32, 0xba52, v7
	v_pk_mul_f16 v24, 0x39e02b26, v31
	v_pk_mul_f16 v35, 0x3574b846, v29
	v_add_f16_e32 v33, v34, v33
	v_add_f16_e32 v34, v16, v50
	v_mul_f16_e32 v17, 0x3b00, v17
	v_alignbit_b32 v32, v32, v24, 16
	v_lshrrev_b32_e32 v37, 16, v35
	v_mul_f16_e32 v36, 0x370e, v33
	v_fmamk_f16 v16, v16, 0xbcab, v34
	v_pk_fma_f16 v17, 0x3574b846, v29, v17 op_sel_hi:[1,1,0] neg_lo:[0,1,0] neg_hi:[0,1,1]
	v_pk_fma_f16 v31, 0x39e02b26, v31, v32 neg_lo:[0,1,0] neg_hi:[0,1,0]
	v_fmamk_f16 v7, v7, 0x3a52, v24
	v_add_f16_e32 v24, v37, v35
	v_pk_add_f16 v32, v55, v77
	v_pk_add_f16 v17, v17, v36 op_sel_hi:[1,0]
	v_pk_add_f16 v31, v31, v16 op_sel_hi:[1,0]
	v_add_f16_e32 v7, v7, v16
	v_fmac_f16_e32 v24, 0x370e, v33
	v_sub_f16_e32 v19, v72, v66
	v_pk_add_f16 v33, v78, v56 neg_lo:[0,1] neg_hi:[0,1]
	v_pk_add_f16 v16, v31, v17
	v_pk_add_f16 v15, v31, v17 neg_lo:[0,1] neg_hi:[0,1]
	v_add_f16_e32 v31, v7, v24
	v_sub_f16_e32 v7, v7, v24
	v_lshrrev_b32_e32 v24, 16, v32
	v_alignbit_b32 v35, v8, v32, 16
	v_bfi_b32 v17, 0xffff, v16, v15
	v_alignbit_b32 v16, v15, v16, 16
	v_lshrrev_b32_e32 v37, 16, v33
	v_add_f16_e32 v15, v8, v24
	v_pack_b32_f16 v24, v19, v33
	v_sub_f16_e32 v8, v8, v32
	v_pk_add_f16 v35, v32, v35 neg_lo:[0,1] neg_hi:[0,1]
	v_add_f16_e32 v36, v19, v33
	v_add_f16_e32 v15, v15, v32
	v_pk_add_f16 v24, v33, v24 neg_lo:[0,1] neg_hi:[0,1]
	v_mul_f16_e32 v32, 0xba52, v8
	v_pk_mul_f16 v33, 0x39e02b26, v35
	v_sub_f16_e32 v19, v19, v37
	v_add_f16_e32 v36, v37, v36
	v_pk_mul_f16 v38, 0x3574b846, v24
	v_add_f16_e32 v37, v15, v51
	v_alignbit_b32 v32, v32, v33, 16
	v_mul_f16_e32 v19, 0x3b00, v19
	v_mad_u32_u24 v5, v20, 14, 0
	v_lshrrev_b32_e32 v41, 16, v38
	v_mul_f16_e32 v39, 0x370e, v36
	v_fmamk_f16 v40, v15, 0xbcab, v37
	v_pk_fma_f16 v32, 0x39e02b26, v35, v32 neg_lo:[0,1,0] neg_hi:[0,1,0]
	v_pk_fma_f16 v19, 0x3574b846, v24, v19 op_sel_hi:[1,1,0] neg_lo:[0,1,0] neg_hi:[0,1,1]
	v_pack_b32_f16 v15, v34, v31
	v_fmamk_f16 v8, v8, 0x3a52, v33
	v_add_f16_e32 v24, v41, v38
	v_lshrrev_b32_e32 v76, 16, v11
	v_pk_add_f16 v31, v32, v40 op_sel_hi:[1,0]
	v_pk_add_f16 v19, v19, v39 op_sel_hi:[1,0]
	v_perm_b32 v79, v11, v14, 0x5040100
	ds_store_b96 v5, v[15:17]
	ds_store_b16 v5, v7 offset:12
	v_add_f16_e32 v7, v8, v40
	v_fmac_f16_e32 v24, 0x370e, v36
	v_perm_b32 v80, v47, v14, 0x7060302
	v_add_f16_e32 v21, v58, v47
	v_sub_f16_e32 v25, v76, v68
	v_pk_add_f16 v8, v31, v19
	v_pk_add_f16 v11, v12, v79
	v_pk_add_f16 v14, v31, v19 neg_lo:[0,1] neg_hi:[0,1]
	v_add_f16_e32 v17, v7, v24
	v_sub_f16_e32 v7, v7, v24
	v_pk_add_f16 v24, v80, v13 neg_lo:[0,1] neg_hi:[0,1]
	v_lshrrev_b32_e32 v19, 16, v11
	v_bfi_b32 v16, 0xffff, v8, v14
	v_alignbit_b32 v31, v21, v11, 16
	v_alignbit_b32 v15, v14, v8, 16
	v_pack_b32_f16 v14, v25, v24
	v_add_f16_e32 v8, v21, v19
	v_sub_f16_e32 v19, v21, v11
	v_pk_add_f16 v21, v11, v31 neg_lo:[0,1] neg_hi:[0,1]
	v_lshrrev_b32_e32 v32, 16, v24
	v_pk_add_f16 v14, v24, v14 neg_lo:[0,1] neg_hi:[0,1]
	v_add_f16_e32 v31, v25, v24
	v_add_f16_e32 v8, v8, v11
	v_mul_f16_e32 v11, 0xba52, v19
	v_pk_mul_f16 v24, 0x39e02b26, v21
	v_sub_f16_e32 v25, v25, v32
	v_pk_mul_f16 v33, 0x3574b846, v14
	v_add_f16_e32 v31, v32, v31
	v_add_f16_e32 v32, v8, v48
	v_alignbit_b32 v11, v11, v24, 16
	v_mul_f16_e32 v25, 0x3b00, v25
	v_lshrrev_b32_e32 v35, 16, v33
	v_mul_f16_e32 v34, 0x370e, v31
	v_fmamk_f16 v8, v8, 0xbcab, v32
	v_pk_fma_f16 v11, 0x39e02b26, v21, v11 neg_lo:[0,1,0] neg_hi:[0,1,0]
	v_pk_fma_f16 v21, 0x3574b846, v14, v25 op_sel_hi:[1,1,0] neg_lo:[0,1,0] neg_hi:[0,1,1]
	v_pack_b32_f16 v14, v37, v17
	v_fmamk_f16 v17, v19, 0x3a52, v24
	v_add_f16_e32 v19, v35, v33
	v_perm_b32 v81, v9, v10, 0x5040100
	v_lshrrev_b32_e32 v73, 16, v9
	v_pk_add_f16 v11, v11, v8 op_sel_hi:[1,0]
	v_pk_add_f16 v21, v21, v34 op_sel_hi:[1,0]
	ds_store_b96 v5, v[14:16] offset:770
	ds_store_b16 v5, v7 offset:782
	v_add_f16_e32 v7, v17, v8
	v_fmac_f16_e32 v19, 0x370e, v31
	v_pk_add_f16 v14, v2, v81
	v_perm_b32 v82, v49, v10, 0x7060302
	v_add_f16_e32 v26, v60, v49
	v_sub_f16_e32 v27, v73, v64
	v_pk_add_f16 v8, v11, v21
	v_pk_add_f16 v11, v11, v21 neg_lo:[0,1] neg_hi:[0,1]
	v_add_f16_e32 v10, v7, v19
	v_lshrrev_b32_e32 v15, 16, v14
	v_pk_add_f16 v16, v82, v3 neg_lo:[0,1] neg_hi:[0,1]
	v_sub_f16_e32 v17, v7, v19
	v_bfi_b32 v9, 0xffff, v8, v11
	v_alignbit_b32 v8, v11, v8, 16
	v_pack_b32_f16 v7, v32, v10
	v_add_f16_e32 v10, v26, v15
	v_alignbit_b32 v11, v26, v14, 16
	v_pack_b32_f16 v15, v27, v16
	v_lshrrev_b32_e32 v19, 16, v16
	v_sub_f16_e32 v21, v26, v14
	v_add_f16_e32 v24, v27, v16
	v_pk_add_f16 v11, v14, v11 neg_lo:[0,1] neg_hi:[0,1]
	v_pk_add_f16 v15, v16, v15 neg_lo:[0,1] neg_hi:[0,1]
	v_sub_f16_e32 v16, v27, v19
	v_add_f16_e32 v10, v10, v14
	v_add_f16_e32 v14, v19, v24
	v_mul_f16_e32 v19, 0xba52, v21
	v_pk_mul_f16 v24, 0x39e02b26, v11
	v_pk_mul_f16 v25, 0x3574b846, v15
	v_lshrrev_b32_e32 v75, 16, v6
	v_add_f16_e32 v26, v10, v46
	v_mul_f16_e32 v16, 0x3b00, v16
	v_alignbit_b32 v19, v19, v24, 16
	v_lshrrev_b32_e32 v31, 16, v25
	s_wait_loadcnt 0x0
	v_perm_b32 v83, v6, v4, 0x5040100
	v_perm_b32 v84, v54, v4, 0x7060302
	v_add_f16_e32 v30, v59, v54
	v_pk_fma_f16 v6, 0x39e02b26, v11, v19 neg_lo:[0,1,0] neg_hi:[0,1,0]
	v_add_f16_e32 v11, v31, v25
	v_sub_f16_e32 v29, v75, v62
	v_mul_f16_e32 v27, 0x370e, v14
	v_fmamk_f16 v10, v10, 0xbcab, v26
	v_fmamk_f16 v21, v21, 0x3a52, v24
	v_pk_fma_f16 v15, 0x3574b846, v15, v16 op_sel_hi:[1,1,0] neg_lo:[0,1,0] neg_hi:[0,1,1]
	v_pk_add_f16 v19, v0, v83
	v_fmac_f16_e32 v11, 0x370e, v14
	v_pk_add_f16 v14, v84, v1 neg_lo:[0,1] neg_hi:[0,1]
	v_add_f16_e32 v16, v21, v10
	v_pk_add_f16 v4, v6, v10 op_sel_hi:[1,0]
	v_pk_add_f16 v6, v15, v27 op_sel_hi:[1,0]
	v_lshrrev_b32_e32 v10, 16, v19
	v_alignbit_b32 v15, v30, v19, 16
	v_pack_b32_f16 v25, v29, v14
	v_sub_f16_e32 v27, v30, v19
	v_lshrrev_b32_e32 v31, 16, v14
	v_add_f16_e32 v10, v30, v10
	v_pk_add_f16 v15, v19, v15 neg_lo:[0,1] neg_hi:[0,1]
	v_add_f16_e32 v30, v29, v14
	v_pk_add_f16 v14, v14, v25 neg_lo:[0,1] neg_hi:[0,1]
	v_sub_f16_e32 v29, v29, v31
	v_add_f16_e32 v10, v10, v19
	v_mul_f16_e32 v19, 0xba52, v27
	v_pk_mul_f16 v25, 0x39e02b26, v15
	v_pk_mul_f16 v32, 0x3574b846, v14
	v_add_f16_e32 v30, v31, v30
	v_add_f16_e32 v31, v10, v18
	v_mul_f16_e32 v29, 0x3b00, v29
	v_alignbit_b32 v19, v19, v25, 16
	v_lshrrev_b32_e32 v34, 16, v32
	v_pk_add_f16 v24, v4, v6
	v_mul_f16_e32 v33, 0x370e, v30
	v_fmamk_f16 v10, v10, 0xbcab, v31
	v_pk_fma_f16 v15, 0x39e02b26, v15, v19 neg_lo:[0,1,0] neg_hi:[0,1,0]
	v_pk_fma_f16 v14, 0x3574b846, v14, v29 op_sel_hi:[1,1,0] neg_lo:[0,1,0] neg_hi:[0,1,1]
	v_pk_add_f16 v4, v4, v6 neg_lo:[0,1] neg_hi:[0,1]
	v_fmamk_f16 v6, v27, 0x3a52, v25
	v_add_f16_e32 v19, v34, v32
	v_pk_add_f16 v15, v15, v10 op_sel_hi:[1,0]
	v_pk_add_f16 v14, v14, v33 op_sel_hi:[1,0]
	v_add_f16_e32 v21, v16, v11
	v_add_f16_e32 v6, v6, v10
	v_fmac_f16_e32 v19, 0x370e, v30
	v_sub_f16_e32 v11, v16, v11
	v_bfi_b32 v16, 0xffff, v24, v4
	v_pk_add_f16 v25, v15, v14
	v_pk_add_f16 v85, v15, v14 neg_lo:[0,1] neg_hi:[0,1]
	v_alignbit_b32 v15, v4, v24, 16
	v_add_f16_e32 v4, v6, v19
	v_pack_b32_f16 v14, v26, v21
	v_lshl_add_u32 v21, v20, 1, 0
	v_bfi_b32 v26, 0xffff, v25, v85
	v_alignbit_b32 v25, v85, v25, 16
	v_pack_b32_f16 v24, v31, v4
	v_sub_f16_e32 v10, v6, v19
	ds_store_b96 v5, v[7:9] offset:1540
	ds_store_b16 v5, v17 offset:1552
	ds_store_b96 v5, v[14:16] offset:2310
	ds_store_b16 v5, v11 offset:2322
	;; [unrolled: 2-line block ×3, first 2 shown]
	global_wb scope:SCOPE_SE
	s_wait_dscnt 0x0
	s_barrier_signal -1
	s_barrier_wait -1
	global_inv scope:SCOPE_SE
	ds_load_u16 v33, v21
	ds_load_u16 v31, v21 offset:110
	ds_load_u16 v7, v21 offset:1860
	;; [unrolled: 1-line block ×32, first 2 shown]
	v_cmp_gt_u32_e64 s0, 10, v20
	v_lshrrev_b32_e32 v4, 16, v85
                                        ; implicit-def: $vgpr86
                                        ; implicit-def: $vgpr89
                                        ; implicit-def: $vgpr107
                                        ; implicit-def: $vgpr108
                                        ; implicit-def: $vgpr105
                                        ; implicit-def: $vgpr106
                                        ; implicit-def: $vgpr109
                                        ; implicit-def: $vgpr110
                                        ; implicit-def: $vgpr111
	s_delay_alu instid0(VALU_DEP_2)
	s_and_saveexec_b32 s1, s0
	s_cbranch_execz .LBB0_13
; %bb.12:
	ds_load_u16 v4, v21 offset:330
	ds_load_u16 v10, v21 offset:680
	;; [unrolled: 1-line block ×11, first 2 shown]
.LBB0_13:
	s_wait_alu 0xfffe
	s_or_b32 exec_lo, exec_lo, s1
	v_sub_f16_e32 v28, v28, v52
	v_add_f16_e32 v52, v66, v72
	v_pk_add_f16 v66, v69, v74
	v_sub_f16_e32 v53, v53, v61
	v_add_f16_e32 v61, v67, v71
	v_sub_f16_e32 v49, v49, v60
	v_add_f16_e32 v60, v64, v73
	v_pk_add_f16 v64, v70, v65 neg_lo:[0,1] neg_hi:[0,1]
	v_lshrrev_b32_e32 v65, 16, v66
	v_sub_f16_e32 v54, v54, v59
	v_add_f16_e32 v59, v62, v75
	v_sub_f16_e32 v47, v47, v58
	v_lshrrev_b32_e32 v62, 16, v64
	v_add_f16_e32 v67, v65, v61
	v_add_f16_e32 v58, v68, v76
	v_sub_f16_e32 v68, v61, v65
	v_sub_f16_e32 v65, v65, v66
	;; [unrolled: 1-line block ×3, first 2 shown]
	v_add_f16_e32 v69, v62, v64
	v_add_f16_e32 v66, v67, v66
	v_sub_f16_e32 v67, v64, v62
	v_sub_f16_e32 v62, v62, v53
	v_lshrrev_b32_e32 v50, 16, v50
	v_sub_f16_e32 v64, v53, v64
	v_add_f16_e32 v53, v53, v69
	v_mul_f16_e32 v61, 0x2b26, v61
	v_mul_f16_e32 v69, 0x3a52, v65
	;; [unrolled: 1-line block ×4, first 2 shown]
	v_add_f16_e32 v50, v66, v50
	v_fmamk_f16 v65, v65, 0x3a52, v61
	v_fma_f16 v61, v68, 0x39e0, -v61
	v_fma_f16 v68, v68, 0xb9e0, -v69
	v_fmamk_f16 v69, v64, 0x3574, v67
	v_fma_f16 v62, v62, 0x3b00, -v67
	v_fma_f16 v64, v64, 0xb574, -v70
	v_fmamk_f16 v66, v66, 0xbcab, v50
	v_pk_add_f16 v55, v77, v55 neg_lo:[0,1] neg_hi:[0,1]
	v_fmac_f16_e32 v69, 0x370e, v53
	v_fmac_f16_e32 v62, 0x370e, v53
	;; [unrolled: 1-line block ×3, first 2 shown]
	v_pk_add_f16 v53, v56, v78
	v_add_f16_e32 v65, v65, v66
	v_add_f16_e32 v61, v61, v66
	v_add_f16_e32 v66, v68, v66
	v_lshrrev_b32_e32 v51, 16, v51
	v_lshrrev_b32_e32 v70, 16, v53
	v_sub_f16_e32 v56, v65, v69
	v_add_f16_e32 v68, v62, v61
	v_sub_f16_e32 v67, v66, v64
	v_sub_f16_e32 v61, v61, v62
	v_add_f16_e32 v62, v64, v66
	v_add_f16_e32 v64, v69, v65
	v_lshrrev_b32_e32 v65, 16, v55
	v_add_f16_e32 v66, v70, v52
	v_sub_f16_e32 v69, v52, v70
	v_sub_f16_e32 v70, v70, v53
	;; [unrolled: 1-line block ×3, first 2 shown]
	v_add_f16_e32 v71, v65, v55
	v_add_f16_e32 v53, v66, v53
	v_sub_f16_e32 v66, v55, v65
	v_sub_f16_e32 v65, v65, v28
	;; [unrolled: 1-line block ×3, first 2 shown]
	v_add_f16_e32 v28, v28, v71
	v_add_f16_e32 v51, v53, v51
	v_mul_f16_e32 v52, 0x2b26, v52
	v_mul_f16_e32 v71, 0x3a52, v70
	;; [unrolled: 1-line block ×4, first 2 shown]
	v_fmamk_f16 v53, v53, 0xbcab, v51
	v_fmamk_f16 v70, v70, 0x3a52, v52
	v_fma_f16 v52, v69, 0x39e0, -v52
	v_fma_f16 v69, v69, 0xb9e0, -v71
	v_fmamk_f16 v71, v55, 0x3574, v66
	v_fma_f16 v55, v55, 0xb574, -v72
	v_fma_f16 v65, v65, 0x3b00, -v66
	v_pk_add_f16 v13, v13, v80
	v_add_f16_e32 v66, v70, v53
	v_add_f16_e32 v69, v69, v53
	v_fmac_f16_e32 v55, 0x370e, v28
	v_add_f16_e32 v52, v52, v53
	v_fmac_f16_e32 v65, 0x370e, v28
	v_pk_add_f16 v12, v79, v12 neg_lo:[0,1] neg_hi:[0,1]
	v_lshrrev_b32_e32 v70, 16, v13
	v_sub_f16_e32 v53, v69, v55
	v_add_f16_e32 v55, v55, v69
	v_add_f16_e32 v72, v65, v52
	v_sub_f16_e32 v52, v52, v65
	v_lshrrev_b32_e32 v65, 16, v12
	v_add_f16_e32 v69, v70, v58
	v_lshrrev_b32_e32 v48, 16, v48
	v_sub_f16_e32 v73, v58, v70
	v_sub_f16_e32 v70, v70, v13
	;; [unrolled: 1-line block ×3, first 2 shown]
	v_add_f16_e32 v74, v65, v12
	v_add_f16_e32 v13, v69, v13
	v_sub_f16_e32 v69, v12, v65
	v_sub_f16_e32 v65, v65, v47
	;; [unrolled: 1-line block ×3, first 2 shown]
	v_add_f16_e32 v47, v47, v74
	v_add_f16_e32 v74, v13, v48
	v_mul_f16_e32 v48, 0x2b26, v58
	v_mul_f16_e32 v58, 0x3a52, v70
	;; [unrolled: 1-line block ×4, first 2 shown]
	v_fmamk_f16 v13, v13, 0xbcab, v74
	v_fmamk_f16 v70, v70, 0x3a52, v48
	v_fma_f16 v48, v73, 0x39e0, -v48
	v_fma_f16 v58, v73, 0xb9e0, -v58
	v_fmamk_f16 v73, v12, 0x3574, v69
	v_fma_f16 v65, v65, 0x3b00, -v69
	v_fma_f16 v12, v12, 0xb574, -v75
	v_pk_add_f16 v3, v3, v82
	v_fmac_f16_e32 v71, 0x370e, v28
	v_add_f16_e32 v69, v70, v13
	v_add_f16_e32 v48, v48, v13
	;; [unrolled: 1-line block ×3, first 2 shown]
	v_fmac_f16_e32 v73, 0x370e, v47
	v_fmac_f16_e32 v12, 0x370e, v47
	;; [unrolled: 1-line block ×3, first 2 shown]
	v_pk_add_f16 v2, v81, v2 neg_lo:[0,1] neg_hi:[0,1]
	v_lshrrev_b32_e32 v47, 16, v3
	v_sub_f16_e32 v28, v66, v71
	v_add_f16_e32 v58, v71, v66
	v_sub_f16_e32 v66, v69, v73
	v_sub_f16_e32 v70, v13, v12
	v_add_f16_e32 v71, v65, v48
	v_sub_f16_e32 v65, v48, v65
	v_add_f16_e32 v12, v12, v13
	v_add_f16_e32 v13, v73, v69
	v_lshrrev_b32_e32 v48, 16, v2
	v_add_f16_e32 v69, v47, v60
	v_lshrrev_b32_e32 v46, 16, v46
	v_sub_f16_e32 v73, v60, v47
	v_sub_f16_e32 v47, v47, v3
	;; [unrolled: 1-line block ×3, first 2 shown]
	v_add_f16_e32 v75, v48, v2
	v_add_f16_e32 v3, v69, v3
	v_sub_f16_e32 v69, v2, v48
	v_sub_f16_e32 v2, v49, v2
	v_sub_f16_e32 v48, v48, v49
	v_add_f16_e32 v49, v49, v75
	v_add_f16_e32 v75, v3, v46
	v_mul_f16_e32 v46, 0x2b26, v60
	v_mul_f16_e32 v60, 0x3a52, v47
	;; [unrolled: 1-line block ×4, first 2 shown]
	v_fmamk_f16 v3, v3, 0xbcab, v75
	v_fmamk_f16 v47, v47, 0x3a52, v46
	v_fma_f16 v46, v73, 0x39e0, -v46
	v_fma_f16 v60, v73, 0xb9e0, -v60
	;; [unrolled: 1-line block ×3, first 2 shown]
	v_pk_add_f16 v1, v1, v84
	v_add_f16_e32 v47, v47, v3
	v_add_f16_e32 v46, v46, v3
	;; [unrolled: 1-line block ×3, first 2 shown]
	v_fmac_f16_e32 v48, 0x370e, v49
	v_pk_add_f16 v0, v83, v0 neg_lo:[0,1] neg_hi:[0,1]
	v_lshrrev_b32_e32 v60, 16, v1
	v_fmamk_f16 v73, v2, 0x3574, v69
	v_fma_f16 v2, v2, 0xb574, -v76
	v_add_f16_e32 v76, v48, v46
	v_sub_f16_e32 v77, v46, v48
	v_lshrrev_b32_e32 v46, 16, v0
	v_add_f16_e32 v48, v60, v59
	v_lshrrev_b32_e32 v18, 16, v18
	v_sub_f16_e32 v78, v59, v60
	v_sub_f16_e32 v60, v60, v1
	;; [unrolled: 1-line block ×3, first 2 shown]
	v_add_f16_e32 v79, v46, v0
	v_add_f16_e32 v1, v48, v1
	v_sub_f16_e32 v48, v0, v46
	v_sub_f16_e32 v46, v46, v54
	;; [unrolled: 1-line block ×3, first 2 shown]
	v_add_f16_e32 v54, v54, v79
	v_add_f16_e32 v18, v1, v18
	v_mul_f16_e32 v59, 0x2b26, v59
	v_mul_f16_e32 v79, 0x3a52, v60
	;; [unrolled: 1-line block ×4, first 2 shown]
	v_fmamk_f16 v1, v1, 0xbcab, v18
	v_fmamk_f16 v60, v60, 0x3a52, v59
	v_fma_f16 v59, v78, 0x39e0, -v59
	v_fma_f16 v78, v78, 0xb9e0, -v79
	v_fmamk_f16 v79, v0, 0x3574, v48
	v_fma_f16 v0, v0, 0xb574, -v80
	v_fma_f16 v46, v46, 0x3b00, -v48
	v_fmac_f16_e32 v2, 0x370e, v49
	v_add_f16_e32 v48, v60, v1
	v_add_f16_e32 v59, v59, v1
	;; [unrolled: 1-line block ×3, first 2 shown]
	v_fmac_f16_e32 v0, 0x370e, v54
	v_fmac_f16_e32 v73, 0x370e, v49
	;; [unrolled: 1-line block ×4, first 2 shown]
	v_sub_f16_e32 v69, v3, v2
	v_add_f16_e32 v54, v2, v3
	v_sub_f16_e32 v78, v1, v0
	v_add_f16_e32 v0, v0, v1
	v_pack_b32_f16 v3, v61, v62
	v_pack_b32_f16 v2, v67, v68
	v_pack_b32_f16 v1, v50, v56
	v_sub_f16_e32 v49, v47, v73
	v_add_f16_e32 v60, v73, v47
	v_sub_f16_e32 v73, v48, v79
	v_add_f16_e32 v80, v46, v59
	;; [unrolled: 2-line block ×3, first 2 shown]
	v_pack_b32_f16 v48, v52, v55
	v_pack_b32_f16 v47, v53, v72
	;; [unrolled: 1-line block ×3, first 2 shown]
	global_wb scope:SCOPE_SE
	s_wait_dscnt 0x0
	s_barrier_signal -1
	s_barrier_wait -1
	global_inv scope:SCOPE_SE
	ds_store_b96 v5, v[1:3]
	ds_store_b16 v5, v64 offset:12
	ds_store_b96 v5, v[46:48] offset:770
	ds_store_b16 v5, v58 offset:782
	v_pack_b32_f16 v3, v65, v12
	v_pack_b32_f16 v2, v70, v71
	;; [unrolled: 1-line block ×9, first 2 shown]
	ds_store_b96 v5, v[1:3] offset:1540
	ds_store_b16 v5, v13 offset:1552
	ds_store_b96 v5, v[46:48] offset:2310
	ds_store_b16 v5, v60 offset:2322
	;; [unrolled: 2-line block ×3, first 2 shown]
	global_wb scope:SCOPE_SE
	s_wait_dscnt 0x0
	s_barrier_signal -1
	s_barrier_wait -1
	global_inv scope:SCOPE_SE
	ds_load_u16 v18, v21
	ds_load_u16 v5, v21 offset:110
	ds_load_u16 v53, v21 offset:460
	;; [unrolled: 1-line block ×32, first 2 shown]
                                        ; implicit-def: $vgpr121
                                        ; implicit-def: $vgpr122
                                        ; implicit-def: $vgpr123
                                        ; implicit-def: $vgpr124
                                        ; implicit-def: $vgpr117
                                        ; implicit-def: $vgpr118
                                        ; implicit-def: $vgpr125
                                        ; implicit-def: $vgpr128
                                        ; implicit-def: $vgpr129
	s_and_saveexec_b32 s1, s0
	s_cbranch_execz .LBB0_15
; %bb.14:
	ds_load_u16 v0, v21 offset:330
	ds_load_u16 v112, v21 offset:680
	;; [unrolled: 1-line block ×11, first 2 shown]
.LBB0_15:
	s_wait_alu 0xfffe
	s_or_b32 exec_lo, exec_lo, s1
	v_and_b32_e32 v1, 0xff, v20
	v_add_nc_u32_e32 v28, 55, v20
	s_delay_alu instid0(VALU_DEP_2) | instskip(NEXT) | instid1(VALU_DEP_2)
	v_mul_lo_u16 v1, v1, 37
	v_and_b32_e32 v12, 0xff, v28
	s_delay_alu instid0(VALU_DEP_2) | instskip(NEXT) | instid1(VALU_DEP_2)
	v_lshrrev_b16 v1, 8, v1
	v_mul_lo_u16 v13, v12, 37
	v_add_nc_u32_e32 v12, 0x6e, v20
	s_delay_alu instid0(VALU_DEP_3) | instskip(NEXT) | instid1(VALU_DEP_3)
	v_sub_nc_u16 v2, v20, v1
	v_lshrrev_b16 v64, 8, v13
	v_add_nc_u32_e32 v13, 0xa5, v20
	s_delay_alu instid0(VALU_DEP_3) | instskip(NEXT) | instid1(VALU_DEP_1)
	v_lshrrev_b16 v2, 1, v2
	v_and_b32_e32 v2, 0x7f, v2
	s_delay_alu instid0(VALU_DEP_1) | instskip(SKIP_1) | instid1(VALU_DEP_2)
	v_add_nc_u16 v2, v2, v1
	v_and_b32_e32 v1, 0xff, v12
	v_lshrrev_b16 v93, 2, v2
	v_sub_nc_u16 v2, v28, v64
	s_delay_alu instid0(VALU_DEP_3) | instskip(NEXT) | instid1(VALU_DEP_3)
	v_mul_lo_u16 v65, v1, 37
	v_mul_lo_u16 v69, v93, 7
	s_delay_alu instid0(VALU_DEP_3) | instskip(NEXT) | instid1(VALU_DEP_3)
	v_lshrrev_b16 v70, 1, v2
	v_lshrrev_b16 v65, 8, v65
	v_and_b32_e32 v2, 0xff, v13
	v_and_b32_e32 v93, 0xffff, v93
	v_sub_nc_u16 v69, v20, v69
	v_and_b32_e32 v70, 0x7f, v70
	v_sub_nc_u16 v71, v12, v65
	s_delay_alu instid0(VALU_DEP_4) | instskip(NEXT) | instid1(VALU_DEP_4)
	v_mul_u32_u24_e32 v93, 0x9a, v93
	v_and_b32_e32 v101, 0xff, v69
	v_mul_lo_u16 v69, v2, 37
	v_add_nc_u16 v64, v70, v64
	v_lshrrev_b16 v70, 1, v71
	s_delay_alu instid0(VALU_DEP_4) | instskip(NEXT) | instid1(VALU_DEP_4)
	v_mul_u32_u24_e32 v71, 10, v101
	v_lshrrev_b16 v69, 8, v69
	s_delay_alu instid0(VALU_DEP_4) | instskip(NEXT) | instid1(VALU_DEP_4)
	v_lshrrev_b16 v99, 2, v64
	v_and_b32_e32 v64, 0x7f, v70
	v_lshlrev_b32_e32 v101, 1, v101
	v_lshlrev_b32_e32 v70, 2, v71
	v_sub_nc_u16 v71, v13, v69
	v_mul_lo_u16 v73, v99, 7
	v_add_nc_u16 v64, v64, v65
	v_add3_u32 v101, 0, v93, v101
	global_load_b128 v[81:84], v70, s[4:5]
	v_lshrrev_b16 v65, 1, v71
	v_sub_nc_u16 v71, v28, v73
	v_lshrrev_b16 v98, 2, v64
	global_load_b128 v[130:133], v70, s[4:5] offset:16
	v_and_b32_e32 v93, 0xffff, v99
	v_and_b32_e32 v64, 0x7f, v65
	;; [unrolled: 1-line block ×3, first 2 shown]
	v_mul_lo_u16 v65, v98, 7
	s_delay_alu instid0(VALU_DEP_4) | instskip(NEXT) | instid1(VALU_DEP_4)
	v_mul_u32_u24_e32 v93, 0x9a, v93
	v_add_nc_u16 v64, v64, v69
	s_delay_alu instid0(VALU_DEP_4) | instskip(NEXT) | instid1(VALU_DEP_4)
	v_mul_u32_u24_e32 v69, 10, v100
	v_sub_nc_u16 v65, v12, v65
	v_lshlrev_b32_e32 v99, 1, v100
	v_and_b32_e32 v100, 0xffff, v98
	v_lshrrev_b16 v94, 2, v64
	v_lshlrev_b32_e32 v64, 2, v69
	v_and_b32_e32 v97, 0xff, v65
	v_add3_u32 v98, 0, v93, v99
	s_delay_alu instid0(VALU_DEP_4)
	v_mul_lo_u16 v65, v94, 7
	global_load_b128 v[134:137], v64, s[4:5]
	v_mul_u32_u24_e32 v69, 10, v97
	s_clause 0x1
	global_load_b128 v[138:141], v64, s[4:5] offset:16
	global_load_b64 v[158:159], v70, s[4:5] offset:32
	v_lshlrev_b32_e32 v93, 1, v97
	v_sub_nc_u16 v65, v13, v65
	v_lshlrev_b32_e32 v69, 2, v69
	s_delay_alu instid0(VALU_DEP_2) | instskip(SKIP_4) | instid1(VALU_DEP_1)
	v_and_b32_e32 v102, 0xff, v65
	s_clause 0x1
	global_load_b128 v[142:145], v69, s[4:5]
	global_load_b128 v[146:149], v69, s[4:5] offset:16
	v_mul_u32_u24_e32 v65, 10, v102
	v_lshlrev_b32_e32 v65, 2, v65
	s_clause 0x4
	global_load_b128 v[150:153], v65, s[4:5]
	global_load_b128 v[154:157], v65, s[4:5] offset:16
	global_load_b64 v[160:161], v64, s[4:5] offset:32
	global_load_b64 v[162:163], v69, s[4:5] offset:32
	global_load_b64 v[164:165], v65, s[4:5] offset:32
	global_wb scope:SCOPE_SE
	s_wait_loadcnt_dscnt 0x0
	s_barrier_signal -1
	s_barrier_wait -1
	global_inv scope:SCOPE_SE
	v_lshrrev_b32_e32 v64, 16, v81
	v_lshrrev_b32_e32 v65, 16, v82
	;; [unrolled: 1-line block ×8, first 2 shown]
	v_mul_f16_e32 v77, v68, v64
	v_mul_f16_e32 v88, v45, v64
	;; [unrolled: 1-line block ×16, first 2 shown]
	v_lshrrev_b32_e32 v76, 16, v134
	v_lshrrev_b32_e32 v95, 16, v135
	;; [unrolled: 1-line block ×3, first 2 shown]
	v_fma_f16 v91, v43, v82, -v79
	v_fmac_f16_e32 v87, v66, v82
	v_fma_f16 v82, v42, v84, -v69
	v_fmac_f16_e32 v73, v62, v84
	v_fma_f16 v84, v39, v132, -v90
	v_fma_f16 v90, v37, v133, -v75
	v_mul_f16_e32 v37, v53, v76
	v_lshrrev_b32_e32 v166, 16, v137
	v_lshrrev_b32_e32 v167, 16, v138
	;; [unrolled: 1-line block ×6, first 2 shown]
	v_fma_f16 v92, v45, v81, -v77
	v_lshrrev_b32_e32 v45, 16, v142
	v_lshrrev_b32_e32 v43, 16, v144
	v_fma_f16 v77, v38, v130, -v70
	v_mul_f16_e32 v75, v30, v76
	v_mul_f16_e32 v38, v54, v95
	v_mul_f16_e32 v70, v14, v95
	v_fma_f16 v76, v30, v134, -v37
	v_mul_f16_e32 v30, v50, v96
	v_mul_f16_e32 v66, v26, v96
	v_lshrrev_b32_e32 v168, 16, v158
	v_fmac_f16_e32 v88, v68, v81
	v_lshrrev_b32_e32 v81, 16, v143
	v_lshrrev_b32_e32 v173, 16, v145
	v_fma_f16 v85, v44, v83, -v85
	v_lshrrev_b32_e32 v44, 16, v146
	v_fmac_f16_e32 v78, v67, v83
	v_lshrrev_b32_e32 v67, 16, v147
	v_lshrrev_b32_e32 v42, 16, v148
	;; [unrolled: 1-line block ×5, first 2 shown]
	v_fmac_f16_e64 v64, v60, v130
	v_lshrrev_b32_e32 v130, 16, v155
	v_fma_f16 v79, v40, v131, -v71
	v_fmac_f16_e64 v65, v61, v131
	v_lshrrev_b32_e32 v131, 16, v157
	v_lshrrev_b32_e32 v180, 16, v160
	v_fmac_f16_e64 v74, v59, v132
	v_lshrrev_b32_e32 v132, 16, v161
	v_lshrrev_b32_e32 v181, 16, v162
	;; [unrolled: 1-line block ×3, first 2 shown]
	v_fmac_f16_e64 v75, v53, v134
	v_mul_f16_e64 v37, v47, v166
	v_mul_f16_e64 v60, v15, v166
	v_fma_f16 v71, v14, v135, -v38
	v_mul_f16_e64 v14, v56, v167
	v_mul_f16_e64 v53, v7, v167
	v_fmac_f16_e64 v70, v54, v135
	v_mul_f16_e64 v40, v52, v169
	v_mul_f16_e64 v54, v9, v169
	v_fma_f16 v68, v26, v136, -v30
	v_mul_f16_e64 v26, v72, v171
	v_mul_f16_e64 v61, v8, v171
	v_fmac_f16_e64 v66, v50, v136
	v_mul_f16_e64 v134, v51, v172
	v_mul_f16_e64 v69, v6, v172
	;; [unrolled: 1-line block ×4, first 2 shown]
	v_mul_f16_e32 v43, v24, v43
	v_mul_f16_e64 v96, v17, v170
	v_lshrrev_b32_e32 v174, 16, v150
	v_lshrrev_b32_e32 v176, 16, v152
	;; [unrolled: 1-line block ×4, first 2 shown]
	v_fmac_f16_e64 v80, v58, v133
	v_lshrrev_b32_e32 v133, 16, v163
	v_lshrrev_b32_e32 v182, 16, v164
	v_fma_f16 v62, v15, v137, -v37
	v_mul_f16_e32 v50, v25, v45
	v_fmac_f16_e64 v60, v47, v137
	v_mul_f16_e32 v45, v55, v81
	v_mul_f16_e32 v47, v41, v81
	v_mul_f16_e64 v137, v46, v173
	v_mul_f16_e64 v39, v11, v173
	;; [unrolled: 1-line block ×3, first 2 shown]
	v_mul_f16_e32 v37, v32, v44
	v_mul_f16_e64 v167, v103, v67
	v_mul_f16_e32 v38, v19, v67
	v_fma_f16 v58, v7, v138, -v14
	v_mul_f16_e64 v169, v104, v168
	v_fmac_f16_e64 v53, v56, v138
	v_mul_f16_e64 v138, v49, v42
	v_mul_f16_e64 v95, v27, v168
	v_fma_f16 v59, v9, v139, -v40
	v_mul_f16_e64 v168, v119, v170
	v_fmac_f16_e64 v54, v52, v139
	v_mul_f16_e64 v139, v126, v83
	v_mul_f16_e32 v44, v35, v83
	v_fma_f16 v67, v8, v140, -v26
	v_fmac_f16_e64 v61, v72, v140
	v_mul_f16_e64 v140, v121, v175
	v_fma_f16 v72, v6, v141, -v134
	v_fmac_f16_e64 v69, v51, v141
	v_mul_f16_e64 v141, v123, v177
	v_mul_f16_e64 v172, v129, v130
	;; [unrolled: 1-line block ×4, first 2 shown]
	v_fma_f16 v56, v25, v142, -v135
	v_mul_f16_e64 v131, v114, v180
	v_mul_f16_e64 v135, v113, v132
	;; [unrolled: 1-line block ×4, first 2 shown]
	v_fmac_f16_e64 v43, v120, v144
	v_mul_f16_e64 v120, v117, v183
	v_fmac_f16_e64 v96, v119, v159
	v_mul_f16_e32 v40, v16, v42
	v_mul_f16_e64 v170, v112, v174
	v_mul_f16_e64 v30, v10, v174
	;; [unrolled: 1-line block ×11, first 2 shown]
	v_fmac_f16_e64 v50, v48, v142
	v_fma_f16 v52, v41, v143, -v45
	v_mul_f16_e64 v51, v36, v181
	v_fmac_f16_e64 v47, v55, v143
	v_mul_f16_e64 v142, v116, v133
	v_mul_f16_e64 v55, v63, v133
	v_fma_f16 v48, v24, v144, -v136
	v_mul_f16_e64 v133, v118, v182
	v_mul_f16_e64 v24, v106, v182
	;; [unrolled: 1-line block ×3, first 2 shown]
	v_fma_f16 v45, v11, v145, -v137
	v_fmac_f16_e64 v39, v46, v145
	v_fma_f16 v41, v32, v146, -v166
	v_fmac_f16_e64 v38, v103, v147
	v_fma_f16 v46, v16, v148, -v138
	v_fma_f16 v103, v27, v158, -v169
	v_fmac_f16_e64 v95, v104, v158
	v_fma_f16 v104, v17, v159, -v168
	v_fma_f16 v32, v86, v151, -v140
	v_fma_f16 v16, v107, v153, -v141
	v_fma_f16 v11, v111, v155, -v172
	v_fma_f16 v27, v109, v157, -v173
	v_fma_f16 v86, v57, v160, -v131
	v_fmac_f16_e64 v83, v113, v161
	v_fma_f16 v57, v36, v162, -v132
	v_fma_f16 v36, v105, v165, -v120
	v_sub_f16_e32 v105, v78, v80
	v_sub_f16_e32 v107, v73, v74
	;; [unrolled: 1-line block ×4, first 2 shown]
	v_mul_f16_e64 v9, v110, v179
	v_fmac_f16_e64 v37, v127, v146
	v_fma_f16 v42, v19, v147, -v167
	v_fmac_f16_e64 v40, v49, v148
	v_fma_f16 v49, v35, v149, -v139
	;; [unrolled: 2-line block ×3, first 2 shown]
	v_fmac_f16_e64 v30, v112, v150
	v_fmac_f16_e64 v26, v121, v151
	v_fma_f16 v19, v89, v152, -v134
	v_fmac_f16_e64 v14, v122, v152
	v_fmac_f16_e64 v8, v123, v153
	v_fma_f16 v10, v108, v154, -v171
	v_fmac_f16_e64 v6, v124, v154
	v_fma_f16 v17, v110, v156, -v130
	v_fmac_f16_e64 v15, v125, v157
	v_fmac_f16_e64 v81, v114, v160
	v_fma_f16 v89, v34, v161, -v135
	v_fmac_f16_e64 v51, v115, v162
	;; [unrolled: 3-line block ×3, first 2 shown]
	v_fmac_f16_e64 v25, v117, v165
	v_add_f16_e32 v106, v85, v90
	v_add_f16_e32 v108, v82, v84
	;; [unrolled: 1-line block ×4, first 2 shown]
	v_sub_f16_e32 v113, v87, v95
	v_mul_f16_e32 v115, 0xbbeb, v105
	v_mul_f16_e32 v116, 0x3482, v105
	;; [unrolled: 1-line block ×15, first 2 shown]
	v_sub_f16_e32 v109, v75, v83
	v_mul_f16_e64 v131, 0xb853, v111
	v_mul_f16_e64 v132, 0xbb47, v111
	;; [unrolled: 1-line block ×4, first 2 shown]
	v_mul_f16_e32 v111, 0xb482, v111
	v_fmac_f16_e64 v7, v129, v155
	v_fmac_f16_e64 v9, v128, v156
	v_fma_f16 v63, v63, v163, -v142
	v_add_f16_e32 v114, v91, v103
	v_add_f16_e64 v128, v76, v89
	v_sub_f16_e64 v129, v70, v81
	v_mul_f16_e64 v135, 0xbb47, v113
	v_mul_f16_e64 v136, 0xba0c, v113
	;; [unrolled: 1-line block ×4, first 2 shown]
	v_mul_f16_e32 v113, 0x3853, v113
	v_fma_f16 v139, v106, 0xb08e, -v115
	v_fmac_f16_e32 v115, 0xb08e, v106
	v_fma_f16 v140, v106, 0xbbad, -v116
	v_fmac_f16_e32 v116, 0xbbad, v106
	;; [unrolled: 2-line block ×15, first 2 shown]
	v_mul_f16_e32 v110, 0xb853, v109
	v_fma_f16 v158, v112, 0x3abb, -v131
	v_fmac_f16_e64 v131, 0x3abb, v112
	v_fma_f16 v159, v112, 0x36a6, -v132
	v_fmac_f16_e64 v132, 0x36a6, v112
	;; [unrolled: 2-line block ×4, first 2 shown]
	v_fma_f16 v162, v112, 0xbbad, -v111
	v_add_f16_e64 v130, v71, v86
	v_mul_f16_e64 v152, 0xbb47, v109
	v_mul_f16_e64 v153, 0xbbeb, v109
	v_mul_f16_e64 v154, 0xba0c, v109
	v_mul_f16_e64 v155, 0xb482, v109
	v_mul_f16_e64 v109, 0xbb47, v129
	v_fmac_f16_e32 v111, 0xbbad, v112
	v_fma_f16 v112, v114, 0x36a6, -v135
	v_fmac_f16_e64 v135, 0x36a6, v114
	v_fma_f16 v163, v114, 0xb93d, -v136
	v_fmac_f16_e64 v136, 0xb93d, v114
	;; [unrolled: 2-line block ×4, first 2 shown]
	v_fma_f16 v166, v114, 0x3abb, -v113
	v_fmac_f16_e32 v113, 0x3abb, v114
	v_fma_f16 v114, v128, 0x3abb, -v110
	v_fmac_f16_e64 v110, 0x3abb, v128
	v_add_f16_e64 v158, v33, v158
	v_add_f16_e64 v131, v33, v131
	;; [unrolled: 1-line block ×10, first 2 shown]
	v_fma_f16 v158, v130, 0x36a6, -v109
	v_fmac_f16_e64 v109, 0x36a6, v130
	v_add_f16_e64 v131, v135, v131
	v_add_f16_e64 v159, v163, v159
	;; [unrolled: 1-line block ×3, first 2 shown]
	v_add_f16_e32 v111, v33, v111
	v_add_f16_e32 v114, v31, v114
	;; [unrolled: 1-line block ×3, first 2 shown]
	v_add_f16_e64 v160, v164, v160
	v_add_f16_e64 v133, v137, v133
	;; [unrolled: 1-line block ×5, first 2 shown]
	v_add_f16_e32 v111, v113, v111
	v_add_f16_e64 v158, v158, v114
	v_add_f16_e64 v161, v109, v110
	v_add_f16_e64 v109, v139, v112
	v_add_f16_e64 v110, v115, v131
	v_add_f16_e64 v112, v140, v159
	v_add_f16_e64 v113, v116, v132
	v_add_f16_e64 v114, v141, v160
	v_add_f16_e64 v115, v117, v133
	v_add_f16_e64 v116, v142, v137
	v_add_f16_e64 v117, v118, v134
	v_add_f16_e64 v118, v143, v138
	v_fma_f16 v170, v128, 0xbbad, -v155
	v_fmac_f16_e64 v155, 0xbbad, v128
	v_add_f16_e32 v105, v105, v111
	v_add_f16_e32 v106, v106, v109
	;; [unrolled: 1-line block ×3, first 2 shown]
	v_add_f16_e64 v110, v144, v112
	v_add_f16_e32 v111, v120, v113
	v_add_f16_e64 v112, v145, v114
	v_add_f16_e32 v113, v121, v115
	v_add_f16_e64 v114, v146, v116
	v_add_f16_e64 v116, v147, v118
	v_mul_f16_e64 v118, 0x3853, v129
	v_mul_f16_e64 v157, 0x3482, v129
	v_fma_f16 v167, v128, 0x36a6, -v152
	v_fmac_f16_e64 v152, 0x36a6, v128
	v_fma_f16 v168, v128, 0xb08e, -v153
	v_fmac_f16_e64 v153, 0xb08e, v128
	;; [unrolled: 2-line block ×3, first 2 shown]
	v_mul_f16_e64 v128, 0x3beb, v129
	v_add_f16_e32 v115, v122, v117
	v_add_f16_e32 v117, v107, v105
	v_add_f16_e32 v107, v125, v113
	v_sub_f16_e32 v120, v66, v69
	v_fma_f16 v122, v130, 0x3abb, -v118
	v_fmac_f16_e64 v118, 0x3abb, v130
	v_add_f16_e64 v125, v31, v155
	v_fma_f16 v163, v130, 0xbbad, -v157
	v_fma_f16 v136, v130, 0xb08e, -v128
	v_add_f16_e64 v168, v31, v168
	v_add_f16_e32 v105, v123, v109
	v_add_f16_e64 v119, v31, v154
	v_fmac_f16_e64 v128, 0xb08e, v130
	v_add_f16_e32 v123, v68, v72
	v_add_f16_e32 v118, v118, v125
	v_mul_f16_e32 v125, 0x3b47, v120
	v_mul_f16_e64 v156, 0xba0c, v129
	v_fmac_f16_e64 v157, 0xbbad, v130
	v_add_f16_e64 v153, v31, v153
	v_add_f16_e64 v169, v31, v169
	;; [unrolled: 1-line block ×3, first 2 shown]
	v_add_f16_e32 v110, v126, v115
	v_add_f16_e64 v115, v163, v168
	v_add_f16_e64 v121, v31, v170
	;; [unrolled: 1-line block ×3, first 2 shown]
	v_fma_f16 v128, v123, 0x36a6, -v125
	v_mul_f16_e64 v129, 0xb853, v120
	v_fma_f16 v135, v130, 0xb93d, -v156
	v_fmac_f16_e64 v156, 0xb93d, v130
	v_add_f16_e64 v167, v31, v167
	v_add_f16_e32 v108, v108, v106
	v_add_f16_e32 v106, v124, v111
	v_add_f16_e64 v111, v149, v112
	v_add_f16_e64 v112, v150, v114
	;; [unrolled: 1-line block ×3, first 2 shown]
	v_add_f16_e32 v114, v127, v117
	v_add_f16_e64 v116, v157, v153
	v_add_f16_e64 v117, v136, v169
	v_mul_f16_e32 v124, 0xbbeb, v120
	v_add_f16_e32 v121, v122, v121
	v_mul_f16_e32 v122, 0x3482, v120
	v_add_f16_e64 v115, v128, v115
	v_mul_f16_e32 v120, 0xba0c, v120
	v_fmac_f16_e32 v125, 0x36a6, v123
	v_fma_f16 v128, v123, 0x3abb, -v129
	v_sub_f16_e64 v130, v60, v61
	v_add_f16_e64 v152, v31, v152
	v_add_f16_e64 v135, v135, v167
	v_fma_f16 v126, v123, 0xb08e, -v124
	v_fmac_f16_e32 v124, 0xb08e, v123
	v_fma_f16 v127, v123, 0xbbad, -v122
	v_fmac_f16_e32 v122, 0xbbad, v123
	v_fmac_f16_e64 v129, 0x3abb, v123
	v_fma_f16 v131, v123, 0xb93d, -v120
	v_fmac_f16_e32 v120, 0xb93d, v123
	v_add_f16_e32 v116, v125, v116
	v_add_f16_e32 v123, v62, v67
	v_mul_f16_e64 v125, 0xba0c, v130
	v_add_f16_e64 v117, v128, v117
	v_mul_f16_e64 v128, 0x3beb, v130
	v_add_f16_e64 v152, v156, v152
	v_add_f16_e64 v126, v126, v158
	;; [unrolled: 1-line block ×6, first 2 shown]
	v_fma_f16 v129, v123, 0xb93d, -v125
	v_add_f16_e32 v118, v120, v118
	v_mul_f16_e64 v120, 0xb853, v130
	v_fmac_f16_e32 v125, 0xb93d, v123
	v_fma_f16 v131, v123, 0xb08e, -v128
	v_add_f16_e64 v122, v122, v152
	v_add_f16_e64 v126, v129, v126
	v_fmac_f16_e64 v128, 0xb08e, v123
	v_fma_f16 v129, v123, 0x3abb, -v120
	v_add_f16_e32 v124, v125, v124
	v_add_f16_e64 v125, v131, v127
	v_mul_f16_e64 v127, 0xb482, v130
	v_add_f16_e64 v122, v128, v122
	v_add_f16_e64 v128, v129, v115
	v_mul_f16_e64 v115, 0x3b47, v130
	v_sub_f16_e64 v130, v53, v54
	v_fma_f16 v129, v123, 0xbbad, -v127
	v_fmac_f16_e32 v120, 0x3abb, v123
	v_fmac_f16_e32 v127, 0xbbad, v123
	v_fma_f16 v131, v123, 0x36a6, -v115
	v_fmac_f16_e32 v115, 0x36a6, v123
	v_add_f16_e32 v123, v58, v59
	v_add_f16_e64 v129, v129, v117
	v_mul_f16_e64 v117, 0x3853, v130
	v_mul_f16_e64 v132, 0xb482, v130
	v_add_f16_e32 v119, v127, v119
	v_add_f16_e32 v127, v115, v118
	;; [unrolled: 1-line block ×3, first 2 shown]
	v_fma_f16 v118, v123, 0x3abb, -v117
	v_add_f16_e64 v121, v131, v121
	v_fma_f16 v116, v123, 0xbbad, -v132
	v_fmac_f16_e64 v132, 0xbbad, v123
	v_mul_f16_e64 v131, 0xba0c, v130
	v_fmac_f16_e32 v117, 0x3abb, v123
	v_add_f16_e32 v118, v118, v125
	v_mul_f16_e64 v125, 0x3b47, v130
	v_add_f16_e32 v116, v116, v126
	v_add_f16_e64 v115, v132, v124
	v_fma_f16 v124, v123, 0xb93d, -v131
	v_add_f16_e32 v117, v117, v122
	v_mul_f16_e64 v122, 0xbbeb, v130
	v_fmac_f16_e64 v131, 0xb93d, v123
	v_fma_f16 v126, v123, 0x36a6, -v125
	v_sub_f16_e64 v130, v50, v55
	v_add_f16_e64 v124, v124, v128
	v_fmac_f16_e32 v125, 0x36a6, v123
	v_fma_f16 v128, v123, 0xb08e, -v122
	v_fmac_f16_e32 v122, 0xb08e, v123
	v_add_f16_e64 v120, v131, v120
	v_add_f16_e64 v123, v126, v129
	v_add_f16_e32 v126, v56, v63
	v_mul_f16_e64 v129, 0xb853, v130
	v_sub_f16_e64 v131, v47, v51
	v_add_f16_e32 v119, v125, v119
	v_mul_f16_e64 v125, 0xbb47, v130
	v_add_f16_e32 v122, v122, v127
	v_fma_f16 v127, v126, 0x3abb, -v129
	v_mul_f16_e64 v132, 0xbbeb, v130
	v_mul_f16_e64 v133, 0xba0c, v130
	v_mul_f16_e64 v130, 0xb482, v130
	v_add_f16_e64 v134, v52, v57
	v_mul_f16_e64 v135, 0xbb47, v131
	v_add_f16_e64 v121, v128, v121
	v_fmac_f16_e64 v129, 0x3abb, v126
	v_fma_f16 v128, v126, 0x36a6, -v125
	v_fmac_f16_e32 v125, 0x36a6, v126
	v_fma_f16 v136, v126, 0xb08e, -v132
	v_fmac_f16_e64 v132, 0xb08e, v126
	v_fma_f16 v137, v126, 0xb93d, -v133
	v_add_f16_e32 v127, v29, v127
	v_fma_f16 v138, v134, 0x36a6, -v135
	v_fmac_f16_e64 v133, 0xb93d, v126
	v_fma_f16 v139, v126, 0xbbad, -v130
	v_fmac_f16_e64 v130, 0xbbad, v126
	v_mul_f16_e64 v126, 0xba0c, v131
	v_add_f16_e64 v127, v138, v127
	v_mul_f16_e64 v138, 0x3482, v131
	v_add_f16_e32 v125, v29, v125
	v_add_f16_e64 v129, v29, v129
	v_fma_f16 v140, v134, 0xb93d, -v126
	v_fmac_f16_e64 v126, 0xb93d, v134
	v_fmac_f16_e64 v135, 0x36a6, v134
	v_add_f16_e64 v136, v29, v136
	v_fma_f16 v141, v134, 0xbbad, -v138
	v_add_f16_e64 v128, v29, v128
	v_add_f16_e32 v125, v126, v125
	v_mul_f16_e64 v126, 0x3beb, v131
	v_add_f16_e64 v129, v135, v129
	v_add_f16_e64 v135, v141, v136
	;; [unrolled: 1-line block ×4, first 2 shown]
	v_fma_f16 v137, v134, 0xb08e, -v126
	v_fmac_f16_e64 v138, 0xbbad, v134
	v_mul_f16_e64 v131, 0x3853, v131
	v_add_f16_e64 v128, v140, v128
	v_add_f16_e64 v133, v29, v133
	;; [unrolled: 1-line block ×3, first 2 shown]
	v_sub_f16_e64 v137, v43, v44
	v_fmac_f16_e64 v126, 0xb08e, v134
	v_add_f16_e64 v132, v138, v132
	v_add_f16_e64 v138, v29, v139
	v_fma_f16 v139, v134, 0x3abb, -v131
	v_fmac_f16_e64 v131, 0x3abb, v134
	v_add_f16_e64 v134, v48, v49
	v_mul_f16_e64 v140, 0xbbeb, v137
	v_add_f16_e64 v130, v29, v130
	v_add_f16_e32 v33, v33, v92
	v_add_f16_e64 v126, v126, v133
	v_add_f16_e64 v133, v139, v138
	v_mul_f16_e64 v138, 0x3482, v137
	v_fma_f16 v139, v134, 0xb08e, -v140
	v_add_f16_e64 v130, v131, v130
	v_fmac_f16_e64 v140, 0xb08e, v134
	v_mul_f16_e64 v131, 0x3b47, v137
	v_add_f16_e32 v33, v33, v91
	v_fma_f16 v141, v134, 0xbbad, -v138
	v_add_f16_e64 v127, v139, v127
	v_fmac_f16_e64 v138, 0xbbad, v134
	v_add_f16_e64 v129, v140, v129
	v_fma_f16 v139, v134, 0x36a6, -v131
	v_mul_f16_e64 v140, 0xb853, v137
	v_add_f16_e32 v33, v33, v85
	v_add_f16_e32 v31, v31, v76
	;; [unrolled: 1-line block ×3, first 2 shown]
	v_add_f16_e64 v125, v138, v125
	v_mul_f16_e64 v137, 0xba0c, v137
	v_add_f16_e64 v135, v139, v135
	v_fmac_f16_e64 v131, 0x36a6, v134
	v_fma_f16 v138, v134, 0x3abb, -v140
	v_sub_f16_e64 v139, v39, v40
	v_add_f16_e32 v33, v33, v82
	v_add_f16_e32 v31, v31, v71
	;; [unrolled: 1-line block ×3, first 2 shown]
	v_add_f16_e64 v128, v141, v128
	v_fmac_f16_e64 v140, 0x3abb, v134
	v_fma_f16 v141, v134, 0xb93d, -v137
	v_fmac_f16_e64 v137, 0xb93d, v134
	v_add_f16_e64 v131, v131, v132
	v_add_f16_e64 v132, v45, v46
	v_mul_f16_e64 v134, 0xba0c, v139
	v_add_f16_e64 v136, v138, v136
	v_mul_f16_e64 v138, 0x3beb, v139
	v_add_f16_e32 v33, v33, v77
	v_add_f16_e32 v31, v31, v68
	;; [unrolled: 1-line block ×3, first 2 shown]
	v_add_f16_e64 v126, v140, v126
	v_add_f16_e64 v133, v141, v133
	v_fma_f16 v140, v132, 0xb93d, -v134
	v_add_f16_e64 v130, v137, v130
	v_fmac_f16_e64 v134, 0xb93d, v132
	v_mul_f16_e64 v137, 0xb853, v139
	v_fma_f16 v141, v132, 0xb08e, -v138
	v_fmac_f16_e64 v138, 0xb08e, v132
	v_add_f16_e32 v33, v33, v79
	v_add_f16_e32 v31, v31, v62
	;; [unrolled: 1-line block ×3, first 2 shown]
	v_add_f16_e64 v127, v140, v127
	v_add_f16_e64 v129, v134, v129
	v_fma_f16 v134, v132, 0x3abb, -v137
	v_mul_f16_e64 v140, 0xb482, v139
	v_add_f16_e64 v125, v138, v125
	v_mul_f16_e64 v138, 0x3b47, v139
	v_fmac_f16_e64 v137, 0x3abb, v132
	v_sub_f16_e64 v139, v37, v38
	v_add_f16_e32 v33, v33, v84
	v_add_f16_e32 v31, v31, v58
	;; [unrolled: 1-line block ×3, first 2 shown]
	v_add_f16_e64 v128, v141, v128
	v_add_f16_e64 v134, v134, v135
	v_fma_f16 v135, v132, 0xbbad, -v140
	v_fmac_f16_e64 v140, 0xbbad, v132
	v_fma_f16 v141, v132, 0x36a6, -v138
	v_fmac_f16_e64 v138, 0x36a6, v132
	v_add_f16_e64 v131, v137, v131
	v_add_f16_e64 v132, v41, v42
	v_mul_f16_e64 v137, 0xb482, v139
	v_add_f16_e32 v33, v33, v90
	v_add_f16_e32 v31, v31, v59
	;; [unrolled: 1-line block ×3, first 2 shown]
	v_add_f16_e64 v135, v135, v136
	v_add_f16_e64 v126, v140, v126
	v_fma_f16 v136, v132, 0xbbad, -v137
	v_mul_f16_e64 v140, 0x3853, v139
	v_add_f16_e32 v33, v33, v103
	v_add_f16_e32 v31, v31, v67
	v_add_f16_e32 v29, v29, v46
	v_add_f16_e64 v130, v138, v130
	v_fmac_f16_e64 v137, 0xbbad, v132
	v_add_f16_e64 v127, v136, v127
	v_fma_f16 v136, v132, 0x3abb, -v140
	v_mul_f16_e64 v138, 0xba0c, v139
	v_add_f16_e32 v33, v33, v104
	v_add_f16_e32 v31, v31, v72
	;; [unrolled: 1-line block ×3, first 2 shown]
	v_add_f16_e64 v129, v137, v129
	v_add_f16_e64 v128, v136, v128
	v_fma_f16 v136, v132, 0xb93d, -v138
	v_mul_f16_e64 v137, 0x3b47, v139
	v_fmac_f16_e64 v140, 0x3abb, v132
	v_mul_f16_e64 v139, 0xbbeb, v139
	v_add_f16_e32 v31, v31, v86
	ds_store_b16 v101, v33
	ds_store_b16 v101, v108 offset:14
	ds_store_b16 v101, v109 offset:28
	;; [unrolled: 1-line block ×7, first 2 shown]
	v_mul_u32_u24_e32 v33, 0x9a, v100
	v_add_f16_e32 v29, v29, v57
	v_add_f16_e64 v134, v136, v134
	v_fma_f16 v136, v132, 0x36a6, -v137
	v_add_f16_e64 v133, v141, v133
	v_add_f16_e64 v125, v140, v125
	v_fmac_f16_e64 v138, 0xb93d, v132
	v_fmac_f16_e64 v137, 0x36a6, v132
	v_fma_f16 v140, v132, 0xb08e, -v139
	v_fmac_f16_e64 v139, 0xb08e, v132
	v_add_f16_e32 v31, v31, v89
	v_add3_u32 v97, 0, v33, v93
	v_add_f16_e32 v33, v29, v63
	v_and_b32_e32 v93, 0xffff, v94
	v_lshlrev_b32_e32 v29, 1, v102
	v_add_f16_e64 v132, v136, v135
	v_add_f16_e64 v131, v138, v131
	;; [unrolled: 1-line block ×5, first 2 shown]
	ds_store_b16 v101, v107 offset:112
	ds_store_b16 v101, v106 offset:126
	;; [unrolled: 1-line block ×3, first 2 shown]
	ds_store_b16 v98, v31
	ds_store_b16 v98, v116 offset:14
	ds_store_b16 v98, v118 offset:28
	;; [unrolled: 1-line block ×10, first 2 shown]
	ds_store_b16 v97, v33
	ds_store_b16 v97, v127 offset:14
	ds_store_b16 v97, v128 offset:28
	;; [unrolled: 1-line block ×10, first 2 shown]
	s_and_saveexec_b32 s1, s0
	s_cbranch_execz .LBB0_17
; %bb.16:
	v_sub_f16_e32 v94, v30, v25
	v_add_f16_e32 v33, v35, v36
	v_sub_f16_e32 v100, v26, v24
	v_add_f16_e32 v99, v32, v34
	v_sub_f16_e32 v105, v14, v15
	v_mul_f16_e32 v110, 0xb482, v94
	v_add_f16_e32 v102, v19, v27
	v_mul_f16_e32 v111, 0x3853, v100
	v_sub_f16_e32 v107, v8, v9
	v_mul_f16_e32 v112, 0xba0c, v105
	v_fmamk_f16 v115, v33, 0xbbad, v110
	v_fma_f16 v110, v33, 0xbbad, -v110
	v_fmamk_f16 v118, v99, 0x3abb, v111
	v_fma_f16 v111, v99, 0x3abb, -v111
	v_add_f16_e32 v106, v16, v17
	v_add_f16_e32 v115, v4, v115
	;; [unrolled: 1-line block ×3, first 2 shown]
	v_sub_f16_e32 v109, v6, v7
	v_mul_f16_e32 v113, 0x3b47, v107
	v_fmamk_f16 v119, v102, 0xb93d, v112
	v_add_f16_e32 v115, v118, v115
	v_fma_f16 v112, v102, 0xb93d, -v112
	v_add_f16_e32 v110, v111, v110
	v_add_f16_e32 v108, v10, v11
	v_mul_f16_e32 v114, 0xbbeb, v109
	v_mul_f16_e32 v116, 0xba0c, v94
	v_fmamk_f16 v120, v106, 0x36a6, v113
	v_add_f16_e32 v115, v119, v115
	v_fma_f16 v113, v106, 0x36a6, -v113
	v_add_f16_e32 v110, v112, v110
	v_mul_f16_e32 v117, 0x3beb, v100
	v_fmamk_f16 v118, v108, 0xb08e, v114
	v_fmamk_f16 v119, v33, 0xb93d, v116
	v_add_f16_e32 v111, v120, v115
	v_add_f16_e32 v110, v113, v110
	v_fma_f16 v113, v108, 0xb08e, -v114
	v_fma_f16 v114, v33, 0xb93d, -v116
	v_add_f16_e32 v115, v4, v119
	v_add_f16_e32 v111, v118, v111
	v_fmamk_f16 v112, v99, 0xb08e, v117
	v_mul_f16_e32 v118, 0xb853, v105
	v_add_f16_e32 v110, v113, v110
	v_add_f16_e32 v113, v4, v114
	v_fma_f16 v114, v99, 0xb08e, -v117
	v_add_f16_e32 v112, v112, v115
	v_fmamk_f16 v115, v102, 0x3abb, v118
	v_mul_f16_e32 v116, 0xb482, v107
	v_mul_f16_e32 v117, 0xbbeb, v94
	v_add_f16_e32 v113, v114, v113
	v_fma_f16 v114, v102, 0x3abb, -v118
	v_add_f16_e32 v112, v115, v112
	v_fmamk_f16 v115, v106, 0xbbad, v116
	v_mul_f16_e32 v118, 0x3482, v100
	v_mul_f16_e32 v121, 0x3b47, v105
	v_add_f16_e32 v113, v114, v113
	v_fma_f16 v114, v106, 0xbbad, -v116
	v_add_f16_e32 v112, v115, v112
	v_fmamk_f16 v115, v33, 0xb08e, v117
	v_fmamk_f16 v116, v99, 0xbbad, v118
	v_fma_f16 v118, v99, 0xbbad, -v118
	v_add_f16_e32 v113, v114, v113
	v_fma_f16 v114, v33, 0xb08e, -v117
	v_add_f16_e32 v115, v4, v115
	v_add_f16_e32 v31, v4, v35
	v_mul_f16_e32 v119, 0x3b47, v109
	v_mul_f16_e32 v117, 0xb853, v107
	v_add_f16_e32 v114, v4, v114
	v_add_f16_e32 v115, v116, v115
	v_fmamk_f16 v116, v102, 0x36a6, v121
	v_add_f16_e32 v31, v31, v32
	v_fmamk_f16 v120, v108, 0x36a6, v119
	v_add_f16_e32 v114, v118, v114
	v_fma_f16 v118, v102, 0x36a6, -v121
	v_add_f16_e32 v115, v116, v115
	v_fmamk_f16 v116, v106, 0x3abb, v117
	v_mul_f16_e32 v121, 0xba0c, v109
	v_fma_f16 v117, v106, 0x3abb, -v117
	v_add_f16_e32 v114, v118, v114
	v_add_f16_e32 v31, v31, v19
	;; [unrolled: 1-line block ×3, first 2 shown]
	v_fma_f16 v119, v108, 0x36a6, -v119
	v_mul_f16_e32 v120, 0xbb47, v94
	v_add_f16_e32 v114, v117, v114
	v_fma_f16 v117, v108, 0xb93d, -v121
	v_add_f16_e32 v31, v31, v16
	v_add_f16_e32 v113, v119, v113
	;; [unrolled: 1-line block ×3, first 2 shown]
	v_fmamk_f16 v116, v33, 0x36a6, v120
	v_mul_f16_e32 v119, 0xba0c, v100
	v_fmamk_f16 v123, v108, 0xb93d, v121
	v_add_f16_e32 v114, v117, v114
	v_fma_f16 v117, v33, 0x36a6, -v120
	v_mul_f16_e32 v94, 0xb853, v94
	v_add_f16_e32 v31, v31, v10
	v_add_f16_e32 v116, v4, v116
	v_fmamk_f16 v118, v99, 0xb93d, v119
	v_mul_f16_e32 v122, 0x3482, v105
	v_add_f16_e32 v115, v123, v115
	v_add_f16_e32 v117, v4, v117
	v_fma_f16 v119, v99, 0xb93d, -v119
	v_fma_f16 v123, v33, 0x3abb, -v94
	v_mul_f16_e32 v100, 0xbb47, v100
	v_add_f16_e32 v31, v31, v11
	v_add_f16_e32 v116, v118, v116
	v_fmamk_f16 v118, v102, 0xbbad, v122
	v_add_f16_e32 v117, v119, v117
	v_fma_f16 v119, v102, 0xbbad, -v122
	v_fmamk_f16 v33, v33, 0x3abb, v94
	v_add_f16_e32 v94, v4, v123
	v_fma_f16 v122, v99, 0x36a6, -v100
	v_mul_f16_e32 v105, 0xbbeb, v105
	v_add_f16_e32 v31, v31, v17
	v_add_f16_e32 v4, v4, v33
	v_fmamk_f16 v33, v99, 0x36a6, v100
	v_add_f16_e32 v94, v122, v94
	v_fma_f16 v99, v102, 0xb08e, -v105
	v_mul_f16_e32 v100, 0xba0c, v107
	v_mul_f16_e32 v121, 0x3beb, v107
	v_add_f16_e32 v31, v31, v27
	v_add_f16_e32 v4, v33, v4
	v_fmamk_f16 v33, v102, 0xb08e, v105
	v_add_f16_e32 v94, v99, v94
	v_fma_f16 v99, v106, 0xb93d, -v100
	v_mul_f16_e32 v105, 0xb482, v109
	v_mul_f16_e32 v120, 0x3853, v109
	v_add_f16_e32 v117, v119, v117
	v_fma_f16 v107, v106, 0xb08e, -v121
	v_add_f16_e32 v31, v31, v34
	v_add_f16_e32 v116, v118, v116
	v_fmamk_f16 v118, v106, 0xb08e, v121
	v_add_f16_e32 v4, v33, v4
	v_fmamk_f16 v33, v106, 0xb93d, v100
	v_add_f16_e32 v94, v99, v94
	v_mul_u32_u24_e32 v99, 0x9a, v93
	v_fma_f16 v100, v108, 0xbbad, -v105
	v_add_f16_e32 v102, v107, v117
	v_fma_f16 v106, v108, 0x3abb, -v120
	v_add_f16_e32 v31, v31, v36
	v_add_f16_e32 v116, v118, v116
	v_fmamk_f16 v118, v108, 0x3abb, v120
	v_add_f16_e32 v4, v33, v4
	v_fmamk_f16 v33, v108, 0xbbad, v105
	v_add3_u32 v99, 0, v99, v29
	v_add_f16_e32 v94, v100, v94
	v_add_f16_e32 v100, v106, v102
	;; [unrolled: 1-line block ×4, first 2 shown]
	ds_store_b16 v99, v31
	ds_store_b16 v99, v94 offset:14
	ds_store_b16 v99, v100 offset:28
	;; [unrolled: 1-line block ×10, first 2 shown]
.LBB0_17:
	s_wait_alu 0xfffe
	s_or_b32 exec_lo, exec_lo, s1
	v_add_f16_e32 v4, v18, v88
	v_sub_f16_e32 v31, v92, v104
	v_add_f16_e32 v33, v88, v96
	v_add_f16_e32 v88, v87, v95
	v_sub_f16_e32 v91, v91, v103
	v_add_f16_e32 v4, v4, v87
	v_mul_f16_e32 v87, 0xb853, v31
	v_mul_f16_e32 v92, 0xbb47, v31
	;; [unrolled: 1-line block ×4, first 2 shown]
	v_add_f16_e32 v4, v4, v78
	v_fmamk_f16 v104, v33, 0x3abb, v87
	v_fma_f16 v87, v33, 0x3abb, -v87
	v_fmamk_f16 v105, v33, 0x36a6, v92
	v_fma_f16 v92, v33, 0x36a6, -v92
	v_add_f16_e32 v4, v4, v73
	v_mul_f16_e32 v99, 0xba0c, v31
	v_mul_f16_e32 v31, 0xb482, v31
	;; [unrolled: 1-line block ×3, first 2 shown]
	v_fmamk_f16 v106, v33, 0xb08e, v94
	v_add_f16_e32 v4, v4, v64
	v_fma_f16 v94, v33, 0xb08e, -v94
	v_add_f16_e32 v110, v18, v87
	v_add_f16_e32 v92, v18, v92
	v_mul_f16_e32 v100, 0xbb47, v91
	v_add_f16_e32 v4, v4, v65
	v_fmamk_f16 v107, v33, 0xb93d, v99
	v_fma_f16 v99, v33, 0xb93d, -v99
	v_fmamk_f16 v108, v33, 0xbbad, v31
	v_fmamk_f16 v109, v88, 0xb93d, v102
	v_add_f16_e32 v4, v4, v74
	v_add_f16_e32 v94, v18, v94
	v_sub_f16_e32 v85, v85, v90
	v_fma_f16 v31, v33, 0xbbad, -v31
	v_fmamk_f16 v33, v88, 0x36a6, v100
	v_add_f16_e32 v4, v4, v80
	v_add_f16_e32 v104, v18, v104
	;; [unrolled: 1-line block ×3, first 2 shown]
	v_mul_f16_e32 v80, 0xbbeb, v85
	v_fma_f16 v100, v88, 0x36a6, -v100
	v_add_f16_e32 v4, v4, v95
	v_add_f16_e32 v95, v18, v99
	;; [unrolled: 1-line block ×6, first 2 shown]
	v_fma_f16 v4, v88, 0xb93d, -v102
	v_fma_f16 v102, v88, 0xbbad, -v103
	v_add_f16_e32 v107, v18, v107
	v_add_f16_e32 v18, v18, v31
	;; [unrolled: 1-line block ×4, first 2 shown]
	v_mul_f16_e32 v92, 0x3beb, v91
	v_mul_f16_e32 v91, 0x3853, v91
	v_add_f16_e32 v94, v102, v94
	v_fmamk_f16 v96, v88, 0xbbad, v103
	v_add_f16_e32 v33, v100, v110
	v_fmamk_f16 v90, v88, 0xb08e, v92
	v_fma_f16 v92, v88, 0xb08e, -v92
	v_fmamk_f16 v102, v88, 0x3abb, v91
	v_fma_f16 v88, v88, 0x3abb, -v91
	v_add_f16_e32 v96, v96, v106
	v_sub_f16_e32 v82, v82, v84
	v_add_f16_e32 v91, v92, v95
	v_add_f16_e32 v92, v102, v99
	v_fmamk_f16 v95, v78, 0xb08e, v80
	v_mul_f16_e32 v99, 0x3482, v85
	v_add_f16_e32 v18, v88, v18
	v_fma_f16 v80, v78, 0xb08e, -v80
	v_mul_f16_e32 v88, 0x3b47, v85
	v_add_f16_e32 v31, v95, v31
	v_fmamk_f16 v95, v78, 0xbbad, v99
	v_fma_f16 v99, v78, 0xbbad, -v99
	v_add_f16_e32 v33, v80, v33
	v_fmamk_f16 v80, v78, 0x36a6, v88
	v_fma_f16 v88, v78, 0x36a6, -v88
	v_mul_f16_e32 v84, 0xba0c, v85
	v_add_f16_e32 v4, v99, v4
	v_mul_f16_e32 v99, 0xb853, v85
	v_add_f16_e32 v90, v90, v107
	v_add_f16_e32 v80, v80, v96
	;; [unrolled: 1-line block ×4, first 2 shown]
	v_fmamk_f16 v85, v78, 0x3abb, v99
	v_fma_f16 v94, v78, 0x3abb, -v99
	v_mul_f16_e32 v74, 0xba0c, v82
	v_fmamk_f16 v96, v78, 0xb93d, v84
	v_add_f16_e32 v100, v109, v105
	v_add_f16_e32 v85, v85, v90
	;; [unrolled: 1-line block ×3, first 2 shown]
	v_fma_f16 v78, v78, 0xb93d, -v84
	v_fmamk_f16 v84, v73, 0xb93d, v74
	v_add_f16_e32 v91, v96, v92
	v_fma_f16 v74, v73, 0xb93d, -v74
	v_mul_f16_e32 v92, 0x3beb, v82
	v_add_f16_e32 v95, v95, v100
	v_add_f16_e32 v18, v78, v18
	;; [unrolled: 1-line block ×3, first 2 shown]
	v_mul_f16_e32 v78, 0xb853, v82
	v_add_f16_e32 v33, v74, v33
	v_fmamk_f16 v74, v73, 0xb08e, v92
	v_fma_f16 v84, v73, 0xb08e, -v92
	v_mul_f16_e32 v92, 0xb482, v82
	v_fmamk_f16 v94, v73, 0x3abb, v78
	v_fma_f16 v78, v73, 0x3abb, -v78
	v_add_f16_e32 v95, v74, v95
	v_add_f16_e32 v4, v84, v4
	v_fmamk_f16 v74, v73, 0xbbad, v92
	v_add_f16_e32 v64, v64, v65
	v_add_f16_e32 v84, v78, v88
	v_sub_f16_e32 v88, v77, v79
	v_mul_f16_e32 v78, 0x3b47, v82
	v_add_f16_e32 v85, v74, v85
	v_add_f16_e32 v74, v5, v75
	v_fma_f16 v82, v73, 0xbbad, -v92
	v_mul_f16_e32 v65, 0xb482, v88
	v_fmamk_f16 v77, v73, 0x36a6, v78
	v_fma_f16 v73, v73, 0x36a6, -v78
	v_add_f16_e32 v74, v74, v70
	v_mul_f16_e32 v92, 0x3b47, v88
	v_fmamk_f16 v78, v64, 0xbbad, v65
	v_add_f16_e32 v91, v77, v91
	v_mul_f16_e32 v77, 0x3853, v88
	v_add_f16_e32 v79, v74, v66
	v_fma_f16 v65, v64, 0xbbad, -v65
	v_add_f16_e32 v74, v78, v31
	v_add_f16_e32 v18, v73, v18
	;; [unrolled: 1-line block ×5, first 2 shown]
	v_mul_f16_e32 v33, 0xba0c, v88
	v_fma_f16 v65, v64, 0x3abb, -v77
	v_add_f16_e32 v90, v82, v90
	v_add_f16_e32 v31, v31, v53
	v_fmamk_f16 v82, v64, 0x3abb, v77
	v_fmamk_f16 v79, v64, 0xb93d, v33
	v_fma_f16 v33, v64, 0xb93d, -v33
	v_add_f16_e32 v77, v65, v4
	v_add_f16_e32 v4, v31, v54
	v_fmamk_f16 v31, v64, 0x36a6, v92
	v_add_f16_e32 v78, v82, v95
	v_add_f16_e32 v80, v79, v80
	;; [unrolled: 1-line block ×3, first 2 shown]
	v_mul_f16_e32 v33, 0xbbeb, v88
	v_add_f16_e32 v4, v4, v61
	v_add_f16_e32 v82, v31, v85
	v_sub_f16_e32 v31, v76, v89
	v_add_f16_e32 v85, v75, v83
	v_fmamk_f16 v76, v64, 0xb08e, v33
	v_add_f16_e32 v4, v4, v69
	v_fma_f16 v33, v64, 0xb08e, -v33
	v_mul_f16_e32 v88, 0xb853, v31
	v_fma_f16 v65, v64, 0x36a6, -v92
	v_sub_f16_e32 v71, v71, v86
	v_add_f16_e32 v4, v4, v81
	v_add_f16_e32 v84, v33, v18
	v_fmamk_f16 v64, v85, 0x3abb, v88
	v_fma_f16 v33, v85, 0x3abb, -v88
	v_mul_f16_e32 v88, 0xba0c, v31
	v_add_f16_e32 v75, v65, v90
	v_mul_f16_e32 v18, 0xbb47, v31
	v_add_f16_e32 v83, v4, v83
	v_add_f16_e32 v4, v5, v64
	v_mul_f16_e32 v64, 0xbbeb, v31
	v_fmamk_f16 v90, v85, 0xb93d, v88
	v_mul_f16_e32 v31, 0xb482, v31
	v_fma_f16 v88, v85, 0xb93d, -v88
	v_fmamk_f16 v65, v85, 0x36a6, v18
	v_fma_f16 v18, v85, 0x36a6, -v18
	v_add_f16_e32 v86, v5, v90
	v_fmamk_f16 v90, v85, 0xbbad, v31
	v_fmamk_f16 v89, v85, 0xb08e, v64
	v_fma_f16 v64, v85, 0xb08e, -v64
	v_add_f16_e32 v70, v70, v81
	v_mul_f16_e32 v81, 0xbb47, v71
	v_fma_f16 v31, v85, 0xbbad, -v31
	v_add_f16_e32 v85, v5, v88
	v_add_f16_e32 v88, v5, v90
	v_mul_f16_e32 v90, 0xba0c, v71
	v_add_f16_e32 v76, v76, v91
	v_add_f16_e32 v33, v5, v33
	;; [unrolled: 1-line block ×6, first 2 shown]
	v_fmamk_f16 v91, v70, 0x36a6, v81
	v_add_f16_e32 v5, v5, v31
	v_fma_f16 v31, v70, 0x36a6, -v81
	v_mul_f16_e32 v81, 0x3482, v71
	v_fmamk_f16 v92, v70, 0xb93d, v90
	v_fma_f16 v90, v70, 0xb93d, -v90
	v_sub_f16_e32 v68, v68, v72
	v_add_f16_e32 v31, v31, v33
	v_fmamk_f16 v33, v70, 0xbbad, v81
	v_fma_f16 v81, v70, 0xbbad, -v81
	v_add_f16_e32 v18, v90, v18
	v_mul_f16_e32 v90, 0x3beb, v71
	v_mul_f16_e32 v71, 0x3853, v71
	v_add_f16_e32 v66, v66, v69
	v_add_f16_e32 v64, v81, v64
	v_mul_f16_e32 v69, 0xbbeb, v68
	v_fmamk_f16 v72, v70, 0xb08e, v90
	v_fma_f16 v81, v70, 0xb08e, -v90
	v_add_f16_e32 v4, v91, v4
	v_add_f16_e32 v33, v33, v89
	v_fmamk_f16 v89, v70, 0x3abb, v71
	v_add_f16_e32 v72, v72, v86
	v_fma_f16 v70, v70, 0x3abb, -v71
	v_add_f16_e32 v71, v81, v85
	v_fmamk_f16 v85, v66, 0xb08e, v69
	v_mul_f16_e32 v86, 0x3482, v68
	v_add_f16_e32 v65, v92, v65
	v_add_f16_e32 v5, v70, v5
	v_fma_f16 v69, v66, 0xb08e, -v69
	v_mul_f16_e32 v70, 0x3b47, v68
	v_add_f16_e32 v4, v85, v4
	v_fmamk_f16 v85, v66, 0xbbad, v86
	v_sub_f16_e32 v62, v62, v67
	v_add_f16_e32 v31, v69, v31
	v_fmamk_f16 v69, v66, 0x36a6, v70
	v_fma_f16 v70, v66, 0x36a6, -v70
	v_add_f16_e32 v65, v85, v65
	v_mul_f16_e32 v85, 0xb853, v68
	v_mul_f16_e32 v67, 0xba0c, v68
	v_add_f16_e32 v33, v69, v33
	v_add_f16_e32 v60, v60, v61
	v_mul_f16_e32 v61, 0xba0c, v62
	v_fma_f16 v69, v66, 0x3abb, -v85
	v_fma_f16 v86, v66, 0xbbad, -v86
	v_add_f16_e32 v64, v70, v64
	v_fmamk_f16 v68, v66, 0x3abb, v85
	v_fmamk_f16 v70, v66, 0xb93d, v67
	v_add_f16_e32 v69, v69, v71
	v_fma_f16 v66, v66, 0xb93d, -v67
	v_fmamk_f16 v67, v60, 0xb93d, v61
	v_fma_f16 v61, v60, 0xb93d, -v61
	v_mul_f16_e32 v71, 0x3beb, v62
	v_sub_f16_e32 v58, v58, v59
	v_add_f16_e32 v59, v3, v50
	v_add_f16_e32 v4, v67, v4
	;; [unrolled: 1-line block ×3, first 2 shown]
	v_fmamk_f16 v61, v60, 0xb08e, v71
	v_fma_f16 v67, v60, 0xb08e, -v71
	v_mul_f16_e32 v71, 0xb482, v62
	v_add_f16_e32 v68, v68, v72
	v_add_f16_e32 v5, v66, v5
	v_mul_f16_e32 v66, 0xb853, v62
	v_add_f16_e32 v61, v61, v65
	v_fmamk_f16 v65, v60, 0xbbad, v71
	v_add_f16_e32 v53, v53, v54
	v_mul_f16_e32 v54, 0xb482, v58
	v_add_f16_e32 v59, v59, v47
	v_add_f16_e32 v18, v86, v18
	v_fmamk_f16 v72, v60, 0x3abb, v66
	v_fma_f16 v66, v60, 0x3abb, -v66
	v_mul_f16_e32 v62, 0x3b47, v62
	v_add_f16_e32 v65, v65, v68
	v_fmamk_f16 v68, v53, 0xbbad, v54
	v_add_f16_e32 v59, v59, v43
	v_add_f16_e32 v18, v67, v18
	;; [unrolled: 1-line block ×3, first 2 shown]
	v_fma_f16 v66, v60, 0xbbad, -v71
	v_fmamk_f16 v67, v60, 0x36a6, v62
	v_fma_f16 v60, v60, 0x36a6, -v62
	v_mul_f16_e32 v62, 0x3853, v58
	v_fma_f16 v54, v53, 0xbbad, -v54
	v_add_f16_e32 v68, v68, v4
	v_add_f16_e32 v4, v59, v39
	;; [unrolled: 1-line block ×5, first 2 shown]
	v_fma_f16 v54, v53, 0x3abb, -v62
	v_add_f16_e32 v4, v4, v37
	v_mul_f16_e32 v59, 0x3b47, v58
	v_add_f16_e32 v70, v70, v81
	v_add_f16_e32 v5, v60, v5
	v_fmamk_f16 v60, v53, 0x3abb, v62
	v_mul_f16_e32 v31, 0xba0c, v58
	v_add_f16_e32 v71, v54, v18
	v_add_f16_e32 v4, v4, v38
	v_fmamk_f16 v18, v53, 0x36a6, v59
	v_add_f16_e32 v33, v72, v33
	v_add_f16_e32 v67, v67, v70
	;; [unrolled: 1-line block ×3, first 2 shown]
	v_fmamk_f16 v60, v53, 0xb93d, v31
	v_fma_f16 v31, v53, 0xb93d, -v31
	v_add_f16_e32 v4, v4, v40
	v_add_f16_e32 v85, v18, v65
	v_sub_f16_e32 v18, v56, v63
	v_add_f16_e32 v72, v60, v33
	v_add_f16_e32 v81, v31, v64
	v_mul_f16_e32 v31, 0xbbeb, v58
	v_fma_f16 v33, v53, 0x36a6, -v59
	v_add_f16_e32 v4, v4, v44
	v_add_f16_e32 v50, v50, v55
	v_mul_f16_e32 v56, 0xb853, v18
	v_fmamk_f16 v54, v53, 0xb08e, v31
	v_fma_f16 v31, v53, 0xb08e, -v31
	v_add_f16_e32 v66, v33, v66
	v_add_f16_e32 v4, v4, v51
	v_fmamk_f16 v33, v50, 0x3abb, v56
	v_add_f16_e32 v67, v54, v67
	v_add_f16_e32 v86, v31, v5
	v_mul_f16_e32 v5, 0xbb47, v18
	v_add_f16_e32 v88, v4, v55
	v_add_f16_e32 v4, v3, v33
	v_mul_f16_e32 v33, 0xbbeb, v18
	v_mul_f16_e32 v54, 0xba0c, v18
	;; [unrolled: 1-line block ×3, first 2 shown]
	v_fma_f16 v31, v50, 0x3abb, -v56
	v_sub_f16_e32 v52, v52, v57
	v_fmamk_f16 v53, v50, 0x36a6, v5
	v_fmamk_f16 v56, v50, 0xb93d, v54
	v_fma_f16 v54, v50, 0xb93d, -v54
	v_fmamk_f16 v57, v50, 0xbbad, v18
	v_fma_f16 v5, v50, 0x36a6, -v5
	;; [unrolled: 2-line block ×3, first 2 shown]
	v_add_f16_e32 v47, v47, v51
	v_mul_f16_e32 v51, 0xbb47, v52
	v_fma_f16 v18, v50, 0xbbad, -v18
	v_add_f16_e32 v50, v3, v54
	v_add_f16_e32 v54, v3, v57
	v_mul_f16_e32 v57, 0xba0c, v52
	v_add_f16_e32 v31, v3, v31
	v_add_f16_e32 v53, v3, v53
	;; [unrolled: 1-line block ×6, first 2 shown]
	v_fmamk_f16 v58, v47, 0x36a6, v51
	v_add_f16_e32 v3, v3, v18
	v_fma_f16 v18, v47, 0x36a6, -v51
	v_mul_f16_e32 v51, 0x3482, v52
	v_fmamk_f16 v59, v47, 0xb93d, v57
	v_fma_f16 v57, v47, 0xb93d, -v57
	v_sub_f16_e32 v48, v48, v49
	v_add_f16_e32 v18, v18, v31
	v_fmamk_f16 v31, v47, 0xbbad, v51
	v_fma_f16 v51, v47, 0xbbad, -v51
	v_add_f16_e32 v5, v57, v5
	v_mul_f16_e32 v57, 0x3beb, v52
	v_mul_f16_e32 v52, 0x3853, v52
	v_add_f16_e32 v31, v31, v55
	v_add_f16_e32 v33, v51, v33
	;; [unrolled: 1-line block ×3, first 2 shown]
	v_fmamk_f16 v49, v47, 0xb08e, v57
	v_fma_f16 v51, v47, 0xb08e, -v57
	v_fmamk_f16 v55, v47, 0x3abb, v52
	v_mul_f16_e32 v44, 0xbbeb, v48
	v_fma_f16 v47, v47, 0x3abb, -v52
	v_add_f16_e32 v4, v58, v4
	v_add_f16_e32 v50, v51, v50
	;; [unrolled: 1-line block ×3, first 2 shown]
	v_fmamk_f16 v52, v43, 0xb08e, v44
	v_mul_f16_e32 v54, 0x3482, v48
	v_add_f16_e32 v3, v47, v3
	v_fma_f16 v44, v43, 0xb08e, -v44
	v_mul_f16_e32 v47, 0x3b47, v48
	v_add_f16_e32 v53, v59, v53
	v_add_f16_e32 v4, v52, v4
	v_fmamk_f16 v52, v43, 0xbbad, v54
	v_add_f16_e32 v18, v44, v18
	v_fmamk_f16 v44, v43, 0x36a6, v47
	v_add_f16_e32 v49, v49, v56
	v_fma_f16 v47, v43, 0x36a6, -v47
	v_add_f16_e32 v52, v52, v53
	v_mul_f16_e32 v53, 0xb853, v48
	v_add_f16_e32 v31, v44, v31
	v_sub_f16_e32 v44, v45, v46
	v_mul_f16_e32 v45, 0xba0c, v48
	v_add_f16_e32 v39, v39, v40
	v_fmamk_f16 v46, v43, 0x3abb, v53
	v_fma_f16 v54, v43, 0xbbad, -v54
	v_mul_f16_e32 v40, 0xba0c, v44
	v_add_f16_e32 v33, v47, v33
	v_fma_f16 v47, v43, 0x3abb, -v53
	v_fmamk_f16 v48, v43, 0xb93d, v45
	v_add_f16_e32 v46, v46, v49
	v_fma_f16 v43, v43, 0xb93d, -v45
	v_fmamk_f16 v45, v39, 0xb93d, v40
	v_mul_f16_e32 v49, 0x3beb, v44
	v_fma_f16 v40, v39, 0xb93d, -v40
	v_add_f16_e32 v5, v54, v5
	v_add_f16_e32 v3, v43, v3
	;; [unrolled: 1-line block ×3, first 2 shown]
	v_mul_f16_e32 v43, 0xb853, v44
	v_fmamk_f16 v45, v39, 0xb08e, v49
	v_add_f16_e32 v18, v40, v18
	v_fma_f16 v40, v39, 0xb08e, -v49
	v_mul_f16_e32 v49, 0xb482, v44
	v_sub_f16_e32 v41, v41, v42
	v_add_f16_e32 v47, v47, v50
	v_fmamk_f16 v50, v39, 0x3abb, v43
	v_fma_f16 v43, v39, 0x3abb, -v43
	v_add_f16_e32 v5, v40, v5
	v_fmamk_f16 v40, v39, 0xbbad, v49
	v_mul_f16_e32 v44, 0x3b47, v44
	v_add_f16_e32 v37, v37, v38
	v_mul_f16_e32 v38, 0xb482, v41
	v_add_f16_e32 v33, v43, v33
	v_add_f16_e32 v40, v40, v46
	v_fma_f16 v42, v39, 0xbbad, -v49
	v_fmamk_f16 v43, v39, 0x36a6, v44
	v_fma_f16 v39, v39, 0x36a6, -v44
	v_mul_f16_e32 v44, 0x3853, v41
	v_fmamk_f16 v46, v37, 0xbbad, v38
	v_fma_f16 v38, v37, 0xbbad, -v38
	v_add_f16_e32 v48, v48, v51
	v_add_f16_e32 v3, v39, v3
	v_mul_f16_e32 v39, 0xba0c, v41
	v_add_f16_e32 v89, v46, v4
	v_fma_f16 v4, v37, 0x3abb, -v44
	v_add_f16_e32 v31, v50, v31
	v_add_f16_e32 v90, v38, v18
	v_fmamk_f16 v18, v37, 0xb93d, v39
	v_mul_f16_e32 v38, 0x3b47, v41
	v_add_f16_e32 v92, v4, v5
	v_mul_f16_e32 v4, 0xbbeb, v41
	v_add_f16_e32 v45, v45, v52
	v_add_f16_e32 v42, v42, v47
	;; [unrolled: 1-line block ×3, first 2 shown]
	v_fmamk_f16 v47, v37, 0x3abb, v44
	v_add_f16_e32 v94, v18, v31
	v_fma_f16 v5, v37, 0xb93d, -v39
	v_fmamk_f16 v18, v37, 0x36a6, v38
	v_fma_f16 v31, v37, 0x36a6, -v38
	v_fmamk_f16 v38, v37, 0xb08e, v4
	v_fma_f16 v4, v37, 0xb08e, -v4
	v_add_f16_e32 v91, v47, v45
	v_add_f16_e32 v95, v5, v33
	;; [unrolled: 1-line block ×6, first 2 shown]
	global_wb scope:SCOPE_SE
	s_wait_dscnt 0x0
	s_barrier_signal -1
	s_barrier_wait -1
	global_inv scope:SCOPE_SE
	ds_load_u16 v54, v21 offset:1650
	ds_load_u16 v53, v21 offset:2420
	;; [unrolled: 1-line block ×6, first 2 shown]
	ds_load_u16 v37, v21
	ds_load_u16 v33, v21 offset:110
	ds_load_u16 v31, v21 offset:220
	;; [unrolled: 1-line block ×28, first 2 shown]
	global_wb scope:SCOPE_SE
	s_wait_dscnt 0x0
	s_barrier_signal -1
	s_barrier_wait -1
	global_inv scope:SCOPE_SE
	ds_store_b16 v101, v87
	ds_store_b16 v101, v74 offset:14
	ds_store_b16 v101, v78 offset:28
	ds_store_b16 v101, v80 offset:42
	ds_store_b16 v101, v82 offset:56
	ds_store_b16 v101, v76 offset:70
	ds_store_b16 v101, v84 offset:84
	ds_store_b16 v101, v75 offset:98
	ds_store_b16 v101, v79 offset:112
	ds_store_b16 v101, v77 offset:126
	ds_store_b16 v101, v73 offset:140
	ds_store_b16 v98, v83
	ds_store_b16 v98, v68 offset:14
	ds_store_b16 v98, v70 offset:28
	ds_store_b16 v98, v72 offset:42
	ds_store_b16 v98, v85 offset:56
	ds_store_b16 v98, v67 offset:70
	ds_store_b16 v98, v86 offset:84
	ds_store_b16 v98, v66 offset:98
	ds_store_b16 v98, v81 offset:112
	ds_store_b16 v98, v71 offset:126
	ds_store_b16 v98, v69 offset:140
	;; [unrolled: 11-line block ×3, first 2 shown]
	s_and_saveexec_b32 s1, s0
	s_cbranch_execz .LBB0_19
; %bb.18:
	v_add_f16_e32 v66, v0, v30
	v_sub_f16_e32 v35, v35, v36
	v_add_f16_e32 v36, v26, v24
	v_add_f16_e32 v30, v30, v25
	v_sub_f16_e32 v32, v32, v34
	v_add_f16_e32 v26, v66, v26
	v_mul_f16_e32 v66, 0xbb47, v35
	v_mul_f16_e32 v67, 0xbbeb, v35
	v_mul_f16_e32 v34, 0xb853, v35
	v_mul_f16_e32 v70, 0xba0c, v32
	v_add_f16_e32 v26, v26, v14
	v_fmamk_f16 v73, v30, 0x36a6, v66
	v_fma_f16 v66, v30, 0x36a6, -v66
	v_mul_f16_e32 v68, 0xba0c, v35
	v_mul_f16_e32 v35, 0xb482, v35
	v_add_f16_e32 v26, v26, v8
	v_mul_f16_e32 v71, 0x3482, v32
	v_fmamk_f16 v74, v30, 0xb08e, v67
	v_fma_f16 v67, v30, 0xb08e, -v67
	v_add_f16_e32 v66, v0, v66
	v_add_f16_e32 v26, v26, v6
	v_mul_f16_e32 v69, 0xbb47, v32
	v_fmamk_f16 v72, v30, 0x3abb, v34
	v_fmamk_f16 v75, v30, 0xb93d, v68
	v_fma_f16 v68, v30, 0xb93d, -v68
	v_add_f16_e32 v26, v26, v7
	v_fmamk_f16 v76, v30, 0xbbad, v35
	v_fmamk_f16 v77, v36, 0xb93d, v70
	v_add_f16_e32 v67, v0, v67
	v_sub_f16_e32 v19, v19, v27
	v_add_f16_e32 v26, v26, v9
	v_fma_f16 v34, v30, 0x3abb, -v34
	v_fma_f16 v30, v30, 0xbbad, -v35
	v_fmamk_f16 v35, v36, 0x36a6, v69
	v_add_f16_e32 v72, v0, v72
	v_add_f16_e32 v26, v26, v15
	;; [unrolled: 1-line block ×3, first 2 shown]
	v_mul_f16_e32 v15, 0xbbeb, v19
	v_fma_f16 v69, v36, 0x36a6, -v69
	v_add_f16_e32 v34, v0, v34
	v_add_f16_e32 v24, v26, v24
	;; [unrolled: 1-line block ×7, first 2 shown]
	v_fma_f16 v25, v36, 0xb93d, -v70
	v_fma_f16 v70, v36, 0xbbad, -v71
	v_add_f16_e32 v75, v0, v75
	v_add_f16_e32 v0, v0, v30
	;; [unrolled: 1-line block ×4, first 2 shown]
	v_mul_f16_e32 v66, 0x3beb, v32
	v_mul_f16_e32 v32, 0x3853, v32
	v_add_f16_e32 v67, v70, v67
	v_fmamk_f16 v35, v36, 0xbbad, v71
	v_add_f16_e32 v34, v69, v34
	v_fmamk_f16 v27, v36, 0xb08e, v66
	v_fma_f16 v66, v36, 0xb08e, -v66
	v_fmamk_f16 v70, v36, 0x3abb, v32
	v_fma_f16 v32, v36, 0x3abb, -v32
	v_add_f16_e32 v35, v35, v74
	v_sub_f16_e32 v16, v16, v17
	v_add_f16_e32 v26, v66, v26
	v_add_f16_e32 v36, v70, v68
	v_fmamk_f16 v66, v14, 0xb08e, v15
	v_mul_f16_e32 v68, 0x3482, v19
	v_add_f16_e32 v0, v32, v0
	v_fma_f16 v15, v14, 0xb08e, -v15
	v_mul_f16_e32 v32, 0x3b47, v19
	v_add_f16_e32 v30, v66, v30
	v_fmamk_f16 v66, v14, 0xbbad, v68
	v_fma_f16 v68, v14, 0xbbad, -v68
	v_add_f16_e32 v15, v15, v34
	v_fmamk_f16 v34, v14, 0x36a6, v32
	v_fma_f16 v32, v14, 0x36a6, -v32
	v_mul_f16_e32 v17, 0xba0c, v19
	v_add_f16_e32 v25, v68, v25
	v_mul_f16_e32 v68, 0xb853, v19
	v_add_f16_e32 v34, v34, v35
	v_add_f16_e32 v8, v8, v9
	v_mul_f16_e32 v9, 0xba0c, v16
	v_add_f16_e32 v32, v32, v67
	v_fma_f16 v35, v14, 0x3abb, -v68
	v_fmamk_f16 v19, v14, 0x3abb, v68
	v_fmamk_f16 v67, v14, 0xb93d, v17
	v_fma_f16 v14, v14, 0xb93d, -v17
	v_fmamk_f16 v17, v8, 0xb93d, v9
	v_add_f16_e32 v26, v35, v26
	v_mul_f16_e32 v35, 0x3beb, v16
	v_fma_f16 v9, v8, 0xb93d, -v9
	v_add_f16_e32 v27, v27, v75
	v_add_f16_e32 v0, v14, v0
	;; [unrolled: 1-line block ×3, first 2 shown]
	v_fmamk_f16 v30, v8, 0xb08e, v35
	v_add_f16_e32 v9, v9, v15
	v_fma_f16 v15, v8, 0xb08e, -v35
	v_mul_f16_e32 v35, 0xb482, v16
	v_add_f16_e32 v19, v19, v27
	v_mul_f16_e32 v17, 0xb853, v16
	v_mul_f16_e32 v16, 0x3b47, v16
	v_add_f16_e32 v15, v15, v25
	v_fmamk_f16 v25, v8, 0xbbad, v35
	v_sub_f16_e32 v10, v10, v11
	v_add_f16_e32 v27, v67, v36
	v_fmamk_f16 v36, v8, 0x3abb, v17
	v_fma_f16 v17, v8, 0x3abb, -v17
	v_add_f16_e32 v11, v25, v19
	v_fma_f16 v19, v8, 0xbbad, -v35
	v_fmamk_f16 v25, v8, 0x36a6, v16
	v_add_f16_e32 v6, v6, v7
	v_mul_f16_e32 v7, 0xb482, v10
	v_fma_f16 v8, v8, 0x36a6, -v16
	v_add_f16_e32 v69, v77, v73
	v_add_f16_e32 v16, v19, v26
	;; [unrolled: 1-line block ×3, first 2 shown]
	v_mul_f16_e32 v25, 0x3853, v10
	v_fmamk_f16 v26, v6, 0xbbad, v7
	v_add_f16_e32 v0, v8, v0
	v_fma_f16 v7, v6, 0xbbad, -v7
	v_mul_f16_e32 v8, 0xba0c, v10
	v_add_f16_e32 v66, v66, v69
	v_fmamk_f16 v27, v6, 0x3abb, v25
	v_fma_f16 v25, v6, 0x3abb, -v25
	v_add_f16_e32 v17, v17, v32
	v_add_f16_e32 v7, v7, v9
	v_fmamk_f16 v9, v6, 0xb93d, v8
	v_fma_f16 v8, v6, 0xb93d, -v8
	v_add_f16_e32 v30, v30, v66
	v_add_f16_e32 v15, v25, v15
	v_mul_f16_e32 v25, 0x3b47, v10
	v_mul_f16_e32 v10, 0xbbeb, v10
	v_add_f16_e32 v8, v8, v17
	v_mul_u32_u24_e32 v17, 0x9a, v93
	v_add_f16_e32 v34, v36, v34
	v_add_f16_e32 v14, v26, v14
	;; [unrolled: 1-line block ×3, first 2 shown]
	v_fmamk_f16 v27, v6, 0x36a6, v25
	v_fma_f16 v25, v6, 0x36a6, -v25
	v_fmamk_f16 v30, v6, 0xb08e, v10
	v_fma_f16 v6, v6, 0xb08e, -v10
	v_add3_u32 v10, 0, v17, v29
	v_add_f16_e32 v9, v9, v34
	v_add_f16_e32 v11, v27, v11
	;; [unrolled: 1-line block ×5, first 2 shown]
	ds_store_b16 v10, v24
	ds_store_b16 v10, v14 offset:14
	ds_store_b16 v10, v26 offset:28
	;; [unrolled: 1-line block ×10, first 2 shown]
.LBB0_19:
	s_wait_alu 0xfffe
	s_or_b32 exec_lo, exec_lo, s1
	v_dual_mov_b32 v25, 0 :: v_dual_lshlrev_b32 v24, 2, v20
	v_subrev_nc_u32_e32 v0, 22, v20
	v_mul_lo_u16 v8, 0xd5, v1
	v_add_nc_u32_e32 v30, 0xdc, v20
	global_wb scope:SCOPE_SE
	s_wait_dscnt 0x0
	v_lshlrev_b64_e32 v[6:7], 2, v[24:25]
	s_barrier_signal -1
	v_lshrrev_b16 v14, 14, v8
	s_barrier_wait -1
	global_inv scope:SCOPE_SE
	v_add_nc_u32_e32 v29, 0x14a, v20
	v_add_co_u32 v26, s0, s4, v6
	s_wait_alu 0xf1ff
	v_add_co_ci_u32_e64 v27, s0, s5, v7, s0
	v_cmp_gt_u32_e64 s0, 22, v20
	global_load_b128 v[66:69], v[26:27], off offset:280
	s_wait_alu 0xf1ff
	v_cndmask_b32_e64 v1, v0, v28, s0
	v_mul_lo_u16 v0, 0xd5, v2
	v_mul_lo_u16 v2, 0x4d, v14
	v_and_b32_e32 v14, 0xffff, v14
	s_delay_alu instid0(VALU_DEP_4) | instskip(NEXT) | instid1(VALU_DEP_4)
	v_lshlrev_b32_e32 v24, 2, v1
	v_lshrrev_b16 v0, 14, v0
	s_delay_alu instid0(VALU_DEP_4)
	v_sub_nc_u16 v2, v12, v2
	v_lshlrev_b32_e32 v1, 1, v1
	v_mul_u32_u24_e32 v14, 0x302, v14
	v_lshlrev_b64_e32 v[6:7], 2, v[24:25]
	v_mul_lo_u16 v0, 0x4d, v0
	v_and_b32_e32 v16, 0xff, v2
	s_delay_alu instid0(VALU_DEP_2) | instskip(NEXT) | instid1(VALU_DEP_4)
	v_sub_nc_u16 v0, v13, v0
	v_add_co_u32 v8, s0, s4, v6
	s_wait_alu 0xf1ff
	v_add_co_ci_u32_e64 v9, s0, s5, v7, s0
	s_delay_alu instid0(VALU_DEP_3)
	v_and_b32_e32 v7, 0xff, v0
	v_lshlrev_b32_e32 v0, 4, v16
	v_cmp_lt_u32_e64 s0, 21, v20
	global_load_b128 v[70:73], v[8:9], off offset:280
	v_and_b32_e32 v8, 0xffff, v29
	v_lshlrev_b32_e32 v2, 4, v7
	s_clause 0x1
	global_load_b128 v[74:77], v0, s[4:5] offset:280
	global_load_b128 v[78:81], v2, s[4:5] offset:280
	v_add_nc_u32_e32 v0, 0x113, v20
	v_and_b32_e32 v2, 0xffff, v30
	v_lshlrev_b32_e32 v16, 1, v16
	v_lshl_add_u32 v7, v7, 1, 0
	s_delay_alu instid0(VALU_DEP_4) | instskip(NEXT) | instid1(VALU_DEP_4)
	v_and_b32_e32 v6, 0xffff, v0
	v_mul_u32_u24_e32 v2, 0x1a99, v2
	s_delay_alu instid0(VALU_DEP_4) | instskip(NEXT) | instid1(VALU_DEP_3)
	v_add3_u32 v14, 0, v14, v16
	v_mul_u32_u24_e32 v6, 0x1a99, v6
	s_delay_alu instid0(VALU_DEP_3) | instskip(SKIP_1) | instid1(VALU_DEP_3)
	v_lshrrev_b32_e32 v32, 19, v2
	v_mul_u32_u24_e32 v2, 0x1a99, v8
	v_lshrrev_b32_e32 v19, 19, v6
	s_delay_alu instid0(VALU_DEP_3) | instskip(NEXT) | instid1(VALU_DEP_3)
	v_mul_lo_u16 v6, 0x4d, v32
	v_lshrrev_b32_e32 v2, 19, v2
	v_mul_u32_u24_e32 v16, 0x302, v32
	s_delay_alu instid0(VALU_DEP_4) | instskip(NEXT) | instid1(VALU_DEP_4)
	v_mul_lo_u16 v8, 0x4d, v19
	v_sub_nc_u16 v6, v30, v6
	s_delay_alu instid0(VALU_DEP_4) | instskip(SKIP_1) | instid1(VALU_DEP_4)
	v_mul_lo_u16 v2, 0x4d, v2
	v_mul_u32_u24_e32 v19, 0x302, v19
	v_sub_nc_u16 v8, v0, v8
	s_delay_alu instid0(VALU_DEP_4) | instskip(NEXT) | instid1(VALU_DEP_4)
	v_and_b32_e32 v34, 0xffff, v6
	v_sub_nc_u16 v2, v29, v2
	s_delay_alu instid0(VALU_DEP_3) | instskip(NEXT) | instid1(VALU_DEP_3)
	v_and_b32_e32 v24, 0xffff, v8
	v_lshlrev_b32_e32 v6, 4, v34
	s_delay_alu instid0(VALU_DEP_3) | instskip(SKIP_1) | instid1(VALU_DEP_4)
	v_and_b32_e32 v17, 0xffff, v2
	v_lshlrev_b32_e32 v32, 1, v34
	v_lshlrev_b32_e32 v2, 4, v24
	global_load_b128 v[82:85], v6, s[4:5] offset:280
	v_lshlrev_b32_e32 v6, 4, v17
	s_clause 0x1
	global_load_b128 v[86:89], v2, s[4:5] offset:280
	global_load_b128 v[90:93], v6, s[4:5] offset:280
	ds_load_u16 v35, v21 offset:770
	ds_load_u16 v36, v21 offset:1540
	;; [unrolled: 1-line block ×10, first 2 shown]
	ds_load_u16 v15, v21
	ds_load_u16 v11, v21 offset:110
	ds_load_u16 v10, v21 offset:220
	ds_load_u16 v8, v21 offset:330
	ds_load_u16 v6, v21 offset:440
	ds_load_u16 v2, v21 offset:550
	ds_load_u16 v102, v21 offset:880
	ds_load_u16 v103, v21 offset:990
	ds_load_u16 v104, v21 offset:1100
	ds_load_u16 v105, v21 offset:1210
	ds_load_u16 v106, v21 offset:1320
	ds_load_u16 v107, v21 offset:1760
	ds_load_u16 v108, v21 offset:1870
	ds_load_u16 v109, v21 offset:1980
	ds_load_u16 v110, v21 offset:2090
	ds_load_u16 v111, v21 offset:2640
	ds_load_u16 v112, v21 offset:2750
	ds_load_u16 v113, v21 offset:2860
	ds_load_u16 v9, v21 offset:660
	ds_load_u16 v114, v21 offset:1430
	ds_load_u16 v115, v21 offset:2200
	ds_load_u16 v116, v21 offset:2970
	ds_load_u16 v118, v21 offset:3520
	ds_load_u16 v119, v21 offset:3630
	ds_load_u16 v120, v21 offset:3740
	v_lshlrev_b32_e32 v24, 1, v24
	global_wb scope:SCOPE_SE
	s_wait_loadcnt_dscnt 0x0
	s_barrier_signal -1
	s_barrier_wait -1
	global_inv scope:SCOPE_SE
	v_add3_u32 v16, 0, v16, v32
	v_lshrrev_b32_e32 v117, 16, v66
	v_lshrrev_b32_e32 v121, 16, v67
	;; [unrolled: 1-line block ×4, first 2 shown]
	s_delay_alu instid0(VALU_DEP_4)
	v_mul_f16_e32 v124, v35, v117
	v_mul_f16_e32 v117, v62, v117
	;; [unrolled: 1-line block ×8, first 2 shown]
	v_fma_f16 v62, v62, v66, -v124
	v_fmac_f16_e32 v117, v35, v66
	v_fma_f16 v35, v63, v67, -v125
	v_fmac_f16_e32 v121, v36, v67
	v_fma_f16 v36, v64, v68, -v126
	v_fmac_f16_e32 v122, v95, v68
	v_fma_f16 v64, v65, v69, -v127
	v_fmac_f16_e32 v123, v98, v69
	v_add_f16_e64 v132, v37, v62
	v_sub_f16_e64 v136, v62, v35
	v_sub_f16_e64 v139, v35, v62
	v_add_f16_e64 v138, v62, v64
	v_sub_f16_e64 v143, v62, v64
	v_lshrrev_b32_e32 v63, 16, v70
	v_lshrrev_b32_e32 v65, 16, v71
	;; [unrolled: 1-line block ×4, first 2 shown]
	v_sub_f16_e32 v62, v117, v121
	v_lshrrev_b32_e32 v68, 16, v74
	v_lshrrev_b32_e32 v69, 16, v75
	;; [unrolled: 1-line block ×8, first 2 shown]
	v_mul_f16_e64 v128, v102, v63
	v_mul_f16_e32 v63, v61, v63
	v_mul_f16_e64 v129, v94, v65
	v_mul_f16_e32 v65, v54, v65
	;; [unrolled: 2-line block ×3, first 2 shown]
	v_sub_f16_e64 v145, v123, v122
	v_mul_f16_e64 v148, v103, v68
	v_mul_f16_e32 v68, v59, v68
	v_mul_f16_e64 v149, v107, v69
	v_mul_f16_e64 v150, v60, v69
	v_mul_f16_e32 v69, v97, v95
	v_mul_f16_e32 v95, v51, v95
	v_mul_f16_e64 v151, v100, v98
	v_mul_f16_e32 v98, v52, v98
	v_mul_f16_e64 v152, v104, v124
	;; [unrolled: 2-line block ×6, first 2 shown]
	v_mul_f16_e32 v66, v53, v66
	v_add_f16_e64 v133, v35, v36
	v_sub_f16_e64 v134, v117, v123
	v_sub_f16_e64 v140, v36, v64
	v_add_f16_e64 v141, v15, v117
	v_add_f16_e64 v142, v121, v122
	;; [unrolled: 1-line block ×3, first 2 shown]
	v_sub_f16_e32 v117, v121, v117
	v_sub_f16_e64 v147, v122, v123
	v_fma_f16 v61, v61, v70, -v128
	v_fmac_f16_e32 v63, v102, v70
	v_fma_f16 v70, v54, v71, -v129
	v_fmac_f16_e32 v65, v94, v71
	v_fmac_f16_e32 v67, v99, v73
	v_add_f16_e64 v54, v132, v35
	v_add_f16_e64 v99, v62, v145
	v_fma_f16 v59, v59, v74, -v148
	v_fmac_f16_e32 v68, v103, v74
	v_fma_f16 v71, v60, v75, -v149
	v_fmac_f16_e64 v150, v107, v75
	v_fma_f16 v74, v51, v76, -v69
	v_fmac_f16_e32 v95, v97, v76
	v_fma_f16 v76, v52, v77, -v151
	v_fmac_f16_e32 v98, v100, v77
	;; [unrolled: 2-line block ×6, first 2 shown]
	v_lshrrev_b32_e32 v51, 16, v82
	v_lshrrev_b32_e32 v52, 16, v83
	;; [unrolled: 1-line block ×12, first 2 shown]
	v_sub_f16_e64 v137, v64, v36
	v_sub_f16_e64 v144, v35, v36
	v_fma_f16 v94, v53, v72, -v130
	v_fmac_f16_e32 v66, v96, v72
	v_fma_f16 v96, v56, v73, -v131
	v_fma_f16 v35, -0.5, v133, v37
	v_fmac_f16_e64 v37, -0.5, v138
	v_add_f16_e64 v73, v139, v140
	v_add_f16_e64 v56, v141, v121
	v_fma_f16 v53, -0.5, v142, v15
	v_fmac_f16_e64 v15, -0.5, v146
	v_add_f16_e64 v102, v117, v147
	v_add_f16_e32 v104, v54, v36
	v_add_f16_e32 v108, v33, v61
	v_sub_f16_e32 v117, v63, v67
	v_add_f16_e64 v132, v11, v63
	v_sub_f16_e64 v138, v63, v65
	v_add_f16_e64 v140, v63, v67
	v_sub_f16_e64 v141, v65, v63
	v_mul_f16_e64 v145, v105, v51
	v_mul_f16_e64 v146, v45, v51
	;; [unrolled: 1-line block ×9, first 2 shown]
	v_mul_f16_e32 v60, v38, v62
	v_mul_f16_e64 v155, v110, v69
	v_mul_f16_e64 v156, v113, v75
	v_mul_f16_e32 v62, v40, v75
	v_mul_f16_e32 v75, v119, v77
	;; [unrolled: 1-line block ×11, first 2 shown]
	v_add_f16_e32 v101, v31, v59
	v_sub_f16_e64 v135, v121, v122
	v_add_f16_e64 v72, v136, v137
	v_add_f16_e32 v107, v56, v122
	v_sub_f16_e32 v121, v65, v66
	v_sub_f16_e32 v122, v61, v70
	v_add_f16_e64 v129, v61, v96
	v_sub_f16_e64 v130, v70, v61
	v_add_f16_e64 v133, v65, v66
	v_sub_f16_e64 v136, v61, v96
	v_mul_f16_e32 v61, v39, v69
	v_add_f16_e64 v157, v71, v74
	v_add_f16_e64 v165, v10, v68
	v_add_f16_e32 v56, v104, v64
	v_add_f16_e32 v64, v108, v70
	v_add_f16_e64 v65, v132, v65
	v_fma_f16 v46, v46, v83, -v147
	v_fmac_f16_e64 v148, v109, v83
	v_fma_f16 v83, v39, v87, -v155
	v_add_f16_e32 v39, v101, v71
	v_sub_f16_e64 v158, v68, v98
	v_add_f16_e64 v162, v59, v76
	v_add_f16_e64 v166, v150, v95
	v_fma_f16 v45, v45, v82, -v145
	v_fmac_f16_e64 v146, v105, v82
	v_fma_f16 v47, v47, v84, -v149
	v_fmac_f16_e64 v151, v112, v84
	v_fma_f16 v82, v38, v86, -v154
	v_fmac_f16_e32 v61, v110, v87
	v_fma_f16 v84, v40, v88, -v156
	v_fmac_f16_e32 v62, v113, v88
	v_fma_f16 v87, v43, v92, -v80
	v_fma_f16 v88, v44, v93, -v81
	v_fma_f16 v38, -0.5, v157, v31
	v_add_f16_e64 v43, v165, v150
	v_add_f16_e32 v44, v64, v94
	v_add_f16_e32 v64, v65, v66
	;; [unrolled: 1-line block ×3, first 2 shown]
	v_sub_f16_e64 v139, v67, v66
	v_sub_f16_e64 v142, v66, v67
	;; [unrolled: 1-line block ×8, first 2 shown]
	v_add_f16_e64 v169, v68, v98
	v_fma_f16 v48, v48, v89, -v75
	v_fmac_f16_e64 v31, -0.5, v162
	v_fma_f16 v71, -0.5, v166, v10
	v_fma_f16 v39, 0x3b9c, v158, v38
	v_fmac_f16_e64 v38, 0xbb9c, v158
	v_add_f16_e32 v66, v43, v95
	v_add_f16_e32 v75, v64, v67
	;; [unrolled: 1-line block ×3, first 2 shown]
	v_sub_f16_e64 v64, v68, v150
	v_sub_f16_e32 v65, v98, v95
	v_sub_f16_e64 v164, v74, v76
	v_fma_f16 v49, v49, v85, -v152
	v_fmac_f16_e64 v153, v118, v85
	v_fma_f16 v85, v41, v90, -v77
	v_add_f16_e64 v77, v160, v161
	v_fma_f16 v40, 0xbb9c, v159, v31
	v_fmac_f16_e64 v31, 0x3b9c, v159
	v_fma_f16 v74, 0xbb9c, v167, v71
	v_fmac_f16_e64 v39, 0x38b4, v159
	v_fmac_f16_e64 v38, 0xb8b4, v159
	v_fmac_f16_e64 v10, -0.5, v169
	v_add_f16_e32 v76, v66, v98
	v_add_f16_e32 v64, v64, v65
	v_fmac_f16_e64 v71, 0x3b9c, v167
	v_sub_f16_e64 v65, v150, v68
	v_sub_f16_e32 v66, v95, v98
	v_add_f16_e32 v67, v100, v103
	v_fmac_f16_e32 v60, v106, v86
	v_fmac_f16_e32 v63, v119, v89
	v_fma_f16 v86, v42, v91, -v78
	v_add_f16_e64 v78, v163, v164
	v_fmac_f16_e64 v40, 0x38b4, v158
	v_fmac_f16_e64 v31, 0xb8b4, v158
	v_fmac_f16_e32 v39, 0x34f2, v77
	v_fmac_f16_e32 v38, 0x34f2, v77
	v_fmac_f16_e64 v74, 0xb8b4, v168
	v_fma_f16 v77, 0x3b9c, v168, v10
	v_fmac_f16_e64 v71, 0x38b4, v168
	v_add_f16_e32 v65, v65, v66
	v_add_f16_e32 v66, v18, v97
	v_fma_f16 v67, -0.5, v67, v18
	v_sub_f16_e32 v68, v124, v127
	v_fmac_f16_e64 v10, 0xbb9c, v168
	v_sub_f16_e32 v80, v97, v100
	v_sub_f16_e32 v81, v79, v103
	v_add_f16_e32 v89, v97, v79
	v_fmac_f16_e32 v52, v114, v90
	v_fmac_f16_e32 v40, 0x34f2, v78
	;; [unrolled: 1-line block ×4, first 2 shown]
	v_fmac_f16_e64 v77, 0xb8b4, v167
	v_fmac_f16_e32 v71, 0x34f2, v64
	v_add_f16_e32 v64, v66, v100
	v_fmamk_f16 v66, v68, 0x3b9c, v67
	v_sub_f16_e32 v78, v125, v126
	v_fmac_f16_e64 v10, 0x38b4, v167
	v_add_f16_e32 v80, v80, v81
	v_fmac_f16_e32 v18, -0.5, v89
	v_fmac_f16_e32 v67, 0xbb9c, v68
	v_sub_f16_e32 v81, v100, v97
	v_sub_f16_e32 v89, v103, v79
	v_add_f16_e32 v90, v8, v124
	v_fmac_f16_e32 v54, v115, v91
	v_fmac_f16_e32 v77, 0x34f2, v65
	v_fmac_f16_e32 v66, 0x38b4, v78
	v_fmac_f16_e32 v10, 0x34f2, v65
	v_fmamk_f16 v65, v78, 0xbb9c, v18
	v_fmac_f16_e32 v67, 0xb8b4, v78
	v_add_f16_e32 v91, v125, v126
	v_add_f16_e32 v81, v81, v89
	v_fmac_f16_e32 v18, 0x3b9c, v78
	v_add_f16_e32 v89, v90, v125
	v_fmac_f16_e32 v55, v116, v92
	;; [unrolled: 2-line block ×3, first 2 shown]
	v_fmac_f16_e32 v65, 0x38b4, v68
	v_fma_f16 v78, -0.5, v91, v8
	v_sub_f16_e32 v90, v97, v79
	v_fmac_f16_e32 v67, 0x34f2, v80
	v_fmac_f16_e32 v18, 0xb8b4, v68
	v_add_f16_e32 v68, v89, v126
	v_add_f16_e32 v80, v124, v127
	v_sub_f16_e32 v91, v124, v125
	v_sub_f16_e32 v92, v127, v126
	v_fmac_f16_e32 v51, v120, v93
	v_add_f16_e32 v64, v64, v79
	v_fmamk_f16 v79, v90, 0xbb9c, v78
	v_sub_f16_e32 v89, v100, v103
	v_fmac_f16_e32 v8, -0.5, v80
	v_add_f16_e32 v80, v68, v127
	v_add_f16_e32 v68, v91, v92
	v_fmac_f16_e32 v78, 0x3b9c, v90
	v_sub_f16_e32 v91, v125, v124
	v_sub_f16_e32 v92, v126, v127
	v_add_f16_e32 v93, v46, v47
	v_add_f16_e32 v111, v70, v94
	v_sub_f16_e64 v128, v96, v94
	v_sub_f16_e64 v131, v94, v96
	;; [unrolled: 1-line block ×3, first 2 shown]
	v_fmac_f16_e32 v65, 0x34f2, v81
	v_fmac_f16_e32 v18, 0x34f2, v81
	v_fmac_f16_e32 v79, 0xb8b4, v89
	v_fmamk_f16 v81, v89, 0x3b9c, v8
	v_fmac_f16_e32 v78, 0x38b4, v89
	v_add_f16_e32 v91, v91, v92
	v_add_f16_e32 v92, v4, v45
	v_fma_f16 v93, -0.5, v93, v4
	v_sub_f16_e64 v94, v146, v153
	v_fmac_f16_e32 v8, 0xbb9c, v89
	v_add_f16_e32 v97, v45, v49
	v_add_f16_e32 v44, v44, v96
	v_fmac_f16_e32 v79, 0x34f2, v68
	v_fmac_f16_e32 v81, 0xb8b4, v90
	;; [unrolled: 1-line block ×3, first 2 shown]
	v_add_f16_e32 v68, v92, v46
	v_fmamk_f16 v89, v94, 0x3b9c, v93
	v_sub_f16_e64 v92, v148, v151
	v_sub_f16_e32 v95, v45, v46
	v_sub_f16_e32 v96, v49, v47
	v_fmac_f16_e32 v8, 0x38b4, v90
	v_fmac_f16_e32 v4, -0.5, v97
	v_fmac_f16_e32 v93, 0xbb9c, v94
	v_add_f16_e64 v97, v6, v146
	v_fmac_f16_e32 v81, 0x34f2, v91
	v_add_f16_e32 v68, v68, v47
	v_fmac_f16_e32 v89, 0x38b4, v92
	v_add_f16_e32 v90, v95, v96
	v_fmac_f16_e32 v8, 0x34f2, v91
	v_fmamk_f16 v91, v92, 0xbb9c, v4
	v_sub_f16_e32 v95, v46, v45
	v_sub_f16_e32 v96, v47, v49
	v_fmac_f16_e32 v93, 0xb8b4, v92
	v_add_f16_e64 v98, v148, v151
	v_fmac_f16_e32 v4, 0x3b9c, v92
	v_add_f16_e64 v92, v97, v148
	v_add_f16_e32 v68, v68, v49
	v_fmac_f16_e32 v91, 0x38b4, v94
	v_add_f16_e32 v95, v95, v96
	v_fma_f16 v96, -0.5, v98, v6
	v_sub_f16_e32 v45, v45, v49
	v_fmac_f16_e32 v4, 0xb8b4, v94
	v_add_f16_e64 v49, v92, v151
	v_add_f16_e64 v92, v146, v153
	v_fma_f16 v57, 0xbb9c, v143, v53
	v_fmac_f16_e64 v53, 0x3b9c, v143
	v_fmac_f16_e32 v89, 0x34f2, v90
	v_fmac_f16_e32 v93, 0x34f2, v90
	;; [unrolled: 1-line block ×3, first 2 shown]
	v_fmamk_f16 v90, v45, 0xbb9c, v96
	v_sub_f16_e32 v46, v46, v47
	v_sub_f16_e64 v47, v146, v148
	v_sub_f16_e64 v94, v153, v151
	v_fmac_f16_e32 v4, 0x34f2, v95
	v_fmac_f16_e32 v6, -0.5, v92
	v_add_f16_e64 v92, v49, v153
	v_fmac_f16_e32 v96, 0x3b9c, v45
	v_sub_f16_e64 v49, v148, v146
	v_sub_f16_e64 v95, v151, v153
	v_add_f16_e32 v97, v83, v84
	v_fma_f16 v58, 0x3b9c, v144, v15
	v_fmac_f16_e64 v15, 0xbb9c, v144
	v_fmac_f16_e64 v57, 0xb8b4, v144
	;; [unrolled: 1-line block ×3, first 2 shown]
	v_fmac_f16_e32 v90, 0xb8b4, v46
	v_add_f16_e32 v47, v47, v94
	v_fmamk_f16 v94, v46, 0x3b9c, v6
	v_fmac_f16_e32 v96, 0x38b4, v46
	v_add_f16_e32 v49, v49, v95
	v_add_f16_e32 v95, v3, v82
	v_fma_f16 v97, -0.5, v97, v3
	v_sub_f16_e32 v98, v60, v63
	v_fmac_f16_e32 v6, 0xbb9c, v46
	v_add_f16_e32 v101, v82, v48
	v_fmac_f16_e64 v58, 0xb8b4, v143
	v_fmac_f16_e64 v15, 0x38b4, v143
	v_fmac_f16_e32 v57, 0x34f2, v99
	v_fmac_f16_e32 v53, 0x34f2, v99
	v_fmac_f16_e32 v90, 0x34f2, v47
	v_fmac_f16_e32 v94, 0xb8b4, v45
	v_fmac_f16_e32 v96, 0x34f2, v47
	v_add_f16_e32 v46, v95, v83
	v_fmamk_f16 v47, v98, 0x3b9c, v97
	v_sub_f16_e32 v95, v61, v62
	v_sub_f16_e32 v99, v82, v83
	;; [unrolled: 1-line block ×3, first 2 shown]
	v_fmac_f16_e32 v6, 0x38b4, v45
	v_fmac_f16_e32 v3, -0.5, v101
	v_fmac_f16_e32 v97, 0xbb9c, v98
	v_add_f16_e32 v101, v2, v60
	v_fmac_f16_e32 v58, 0x34f2, v102
	v_fmac_f16_e32 v15, 0x34f2, v102
	;; [unrolled: 1-line block ×3, first 2 shown]
	v_add_f16_e32 v45, v46, v84
	v_fmac_f16_e32 v47, 0x38b4, v95
	v_add_f16_e32 v46, v99, v100
	v_fmac_f16_e32 v6, 0x34f2, v49
	v_fmamk_f16 v49, v95, 0xbb9c, v3
	v_sub_f16_e32 v99, v83, v82
	v_sub_f16_e32 v100, v84, v48
	v_fmac_f16_e32 v97, 0xb8b4, v95
	v_add_f16_e32 v102, v61, v62
	v_fmac_f16_e32 v3, 0x3b9c, v95
	v_add_f16_e32 v95, v101, v61
	v_add_f16_e32 v45, v45, v48
	v_fmac_f16_e32 v47, 0x34f2, v46
	v_add_f16_e32 v99, v99, v100
	v_fma_f16 v100, -0.5, v102, v2
	v_sub_f16_e32 v48, v82, v48
	v_fmac_f16_e32 v97, 0x34f2, v46
	v_add_f16_e32 v46, v95, v62
	v_add_f16_e32 v95, v60, v63
	v_fmac_f16_e32 v49, 0x38b4, v98
	v_fmac_f16_e32 v3, 0xb8b4, v98
	v_fmamk_f16 v82, v48, 0xbb9c, v100
	v_sub_f16_e32 v83, v83, v84
	v_sub_f16_e32 v84, v60, v61
	;; [unrolled: 1-line block ×3, first 2 shown]
	v_fmac_f16_e32 v2, -0.5, v95
	v_fmac_f16_e32 v100, 0x3b9c, v48
	v_sub_f16_e32 v60, v61, v60
	v_sub_f16_e32 v61, v62, v63
	v_add_f16_e32 v62, v86, v87
	v_fmac_f16_e32 v49, 0x34f2, v99
	v_fmac_f16_e32 v3, 0x34f2, v99
	v_add_f16_e32 v95, v46, v63
	v_fmac_f16_e32 v82, 0xb8b4, v83
	v_add_f16_e32 v46, v84, v98
	v_fmamk_f16 v84, v83, 0x3b9c, v2
	v_fmac_f16_e32 v100, 0x38b4, v83
	v_add_f16_e32 v60, v60, v61
	v_fmac_f16_e32 v2, 0xbb9c, v83
	v_add_f16_e32 v61, v5, v85
	v_fma_f16 v62, -0.5, v62, v5
	v_sub_f16_e32 v63, v52, v51
	v_add_f16_e32 v99, v85, v88
	v_fmac_f16_e32 v82, 0x34f2, v46
	v_fmac_f16_e32 v84, 0xb8b4, v48
	;; [unrolled: 1-line block ×4, first 2 shown]
	v_add_f16_e32 v46, v61, v86
	v_fmamk_f16 v48, v63, 0x3b9c, v62
	v_sub_f16_e32 v61, v54, v55
	v_sub_f16_e32 v83, v85, v86
	;; [unrolled: 1-line block ×3, first 2 shown]
	v_fmac_f16_e32 v62, 0xbb9c, v63
	v_fmac_f16_e32 v5, -0.5, v99
	v_fmac_f16_e32 v84, 0x34f2, v60
	v_fmac_f16_e32 v48, 0x38b4, v61
	v_add_f16_e32 v83, v83, v98
	v_fmac_f16_e32 v62, 0xb8b4, v61
	v_fmac_f16_e32 v2, 0x34f2, v60
	v_fmamk_f16 v60, v61, 0xbb9c, v5
	v_fmac_f16_e32 v5, 0x3b9c, v61
	v_add_f16_e32 v46, v46, v87
	v_fmac_f16_e32 v48, 0x34f2, v83
	v_fmac_f16_e32 v62, 0x34f2, v83
	v_add_f16_e32 v83, v54, v55
	v_sub_f16_e32 v98, v86, v85
	v_sub_f16_e32 v99, v87, v88
	v_add_f16_e32 v61, v9, v52
	v_fmac_f16_e32 v60, 0x38b4, v63
	v_fmac_f16_e32 v5, 0xb8b4, v63
	v_add_f16_e32 v63, v52, v51
	v_add_f16_e32 v46, v46, v88
	v_fma_f16 v83, -0.5, v83, v9
	v_sub_f16_e32 v85, v85, v88
	v_add_f16_e32 v88, v98, v99
	v_add_f16_e32 v61, v61, v54
	v_sub_f16_e32 v86, v86, v87
	v_fmac_f16_e32 v9, -0.5, v63
	v_fma_f16 v59, -0.5, v111, v33
	v_fmac_f16_e64 v33, -0.5, v129
	v_fmac_f16_e32 v60, 0x34f2, v88
	v_fmac_f16_e32 v5, 0x34f2, v88
	v_add_f16_e32 v61, v61, v55
	v_fmamk_f16 v88, v86, 0x3b9c, v9
	v_fmac_f16_e32 v9, 0xbb9c, v86
	v_fma_f16 v36, 0x3b9c, v134, v35
	v_fmamk_f16 v41, v117, 0x3b9c, v59
	v_fma_f16 v50, 0xbb9c, v135, v37
	v_fmamk_f16 v42, v121, 0xbb9c, v33
	v_fmac_f16_e64 v37, 0x3b9c, v135
	v_fmac_f16_e32 v33, 0x3b9c, v121
	v_fmac_f16_e64 v35, 0xbb9c, v134
	v_fmac_f16_e32 v59, 0xbb9c, v117
	v_fmamk_f16 v98, v85, 0xbb9c, v83
	v_sub_f16_e32 v63, v52, v54
	v_sub_f16_e32 v87, v51, v55
	v_fmac_f16_e32 v83, 0x3b9c, v85
	v_sub_f16_e32 v52, v54, v52
	v_sub_f16_e32 v54, v55, v51
	v_fmac_f16_e32 v88, 0xb8b4, v85
	v_fmac_f16_e32 v9, 0x38b4, v85
	v_add_f16_e32 v85, v61, v51
	s_wait_alu 0xf1ff
	v_cndmask_b32_e64 v51, 0, 0x302, s0
	v_fmac_f16_e64 v36, 0x38b4, v135
	v_add_f16_e64 v104, v122, v128
	v_fmac_f16_e32 v41, 0x38b4, v121
	v_fmac_f16_e64 v50, 0x38b4, v134
	v_add_f16_e32 v69, v107, v123
	v_add_f16_e64 v107, v130, v131
	v_fmac_f16_e32 v42, 0x38b4, v117
	v_fmac_f16_e64 v37, 0xb8b4, v134
	v_fmac_f16_e32 v33, 0xb8b4, v117
	v_fmac_f16_e64 v35, 0xb8b4, v135
	v_fmac_f16_e32 v59, 0xb8b4, v121
	v_add3_u32 v1, 0, v51, v1
	v_fmac_f16_e32 v36, 0x34f2, v72
	v_fmac_f16_e32 v41, 0x34f2, v104
	;; [unrolled: 1-line block ×9, first 2 shown]
	v_add_f16_e32 v55, v63, v87
	v_fmac_f16_e32 v83, 0x38b4, v86
	v_add_f16_e32 v52, v52, v54
	ds_store_b16 v21, v56
	ds_store_b16 v21, v36 offset:154
	ds_store_b16 v21, v50 offset:308
	ds_store_b16 v21, v37 offset:462
	ds_store_b16 v21, v35 offset:616
	ds_store_b16 v1, v44
	ds_store_b16 v1, v41 offset:154
	ds_store_b16 v1, v42 offset:308
	ds_store_b16 v1, v33 offset:462
	ds_store_b16 v1, v59 offset:616
	;; [unrolled: 5-line block ×3, first 2 shown]
	ds_store_b16 v7, v64 offset:1540
	ds_store_b16 v7, v66 offset:1694
	;; [unrolled: 1-line block ×5, first 2 shown]
	v_add3_u32 v18, 0, v19, v24
	v_fmac_f16_e32 v98, 0x34f2, v55
	v_fmac_f16_e32 v83, 0x34f2, v55
	;; [unrolled: 1-line block ×4, first 2 shown]
	ds_store_b16 v16, v68
	ds_store_b16 v16, v89 offset:154
	ds_store_b16 v16, v91 offset:308
	;; [unrolled: 1-line block ×4, first 2 shown]
	v_lshl_add_u32 v4, v17, 1, 0
	ds_store_b16 v18, v45
	ds_store_b16 v18, v47 offset:154
	ds_store_b16 v18, v49 offset:308
	;; [unrolled: 1-line block ×9, first 2 shown]
	global_wb scope:SCOPE_SE
	s_wait_dscnt 0x0
	s_barrier_signal -1
	s_barrier_wait -1
	global_inv scope:SCOPE_SE
	ds_load_u16 v42, v21 offset:2530
	ds_load_u16 v43, v21 offset:3300
	ds_load_u16 v48, v21 offset:3410
	ds_load_u16 v31, v21
	ds_load_u16 v36, v21 offset:110
	ds_load_u16 v40, v21 offset:220
	;; [unrolled: 1-line block ×31, first 2 shown]
	v_fma_f16 v70, -0.5, v133, v11
	v_fmac_f16_e64 v11, -0.5, v140
	v_add_f16_e64 v108, v138, v139
	v_add_f16_e64 v111, v141, v142
	global_wb scope:SCOPE_SE
	s_wait_dscnt 0x0
	v_fma_f16 v72, 0xbb9c, v136, v70
	v_fmac_f16_e64 v70, 0x3b9c, v136
	v_fma_f16 v73, 0x3b9c, v137, v11
	v_fmac_f16_e64 v11, 0xbb9c, v137
	s_barrier_signal -1
	v_fmac_f16_e64 v72, 0xb8b4, v137
	v_fmac_f16_e64 v70, 0x38b4, v137
	;; [unrolled: 1-line block ×4, first 2 shown]
	s_barrier_wait -1
	v_fmac_f16_e32 v72, 0x34f2, v108
	v_fmac_f16_e32 v70, 0x34f2, v108
	;; [unrolled: 1-line block ×4, first 2 shown]
	global_inv scope:SCOPE_SE
	ds_store_b16 v21, v69
	ds_store_b16 v21, v57 offset:154
	ds_store_b16 v21, v58 offset:308
	ds_store_b16 v21, v15 offset:462
	ds_store_b16 v21, v53 offset:616
	ds_store_b16 v1, v75
	ds_store_b16 v1, v72 offset:154
	ds_store_b16 v1, v73 offset:308
	ds_store_b16 v1, v11 offset:462
	ds_store_b16 v1, v70 offset:616
	;; [unrolled: 5-line block ×3, first 2 shown]
	ds_store_b16 v7, v80 offset:1540
	ds_store_b16 v7, v79 offset:1694
	;; [unrolled: 1-line block ×5, first 2 shown]
	ds_store_b16 v16, v92
	ds_store_b16 v16, v90 offset:154
	ds_store_b16 v16, v94 offset:308
	;; [unrolled: 1-line block ×4, first 2 shown]
	ds_store_b16 v18, v95
	ds_store_b16 v18, v82 offset:154
	ds_store_b16 v18, v84 offset:308
	;; [unrolled: 1-line block ×9, first 2 shown]
	global_wb scope:SCOPE_SE
	s_wait_dscnt 0x0
	s_barrier_signal -1
	s_barrier_wait -1
	global_inv scope:SCOPE_SE
	s_and_saveexec_b32 s0, vcc_lo
	s_cbranch_execz .LBB0_21
; %bb.20:
	v_lshlrev_b32_e32 v24, 2, v29
	s_delay_alu instid0(VALU_DEP_1) | instskip(SKIP_1) | instid1(VALU_DEP_2)
	v_lshlrev_b64_e32 v[1:2], 2, v[24:25]
	v_lshlrev_b32_e32 v24, 2, v0
	v_add_co_u32 v1, vcc_lo, s4, v1
	s_wait_alu 0xfffd
	s_delay_alu instid0(VALU_DEP_3) | instskip(SKIP_4) | instid1(VALU_DEP_2)
	v_add_co_ci_u32_e32 v2, vcc_lo, s5, v2, vcc_lo
	global_load_b128 v[4:7], v[1:2], off offset:1512
	v_lshlrev_b64_e32 v[0:1], 2, v[24:25]
	v_lshlrev_b32_e32 v24, 2, v30
	v_mul_hi_u32 v30, 0x551c979b, v30
	v_lshlrev_b64_e32 v[8:9], 2, v[24:25]
	v_lshlrev_b32_e32 v24, 2, v13
	v_add_co_u32 v0, vcc_lo, s4, v0
	s_wait_alu 0xfffd
	v_add_co_ci_u32_e32 v1, vcc_lo, s5, v1, vcc_lo
	s_delay_alu instid0(VALU_DEP_3)
	v_lshlrev_b64_e32 v[13:14], 2, v[24:25]
	v_add_co_u32 v8, vcc_lo, s4, v8
	global_load_b128 v[0:3], v[0:1], off offset:1512
	s_wait_alu 0xfffd
	v_add_co_ci_u32_e32 v9, vcc_lo, s5, v9, vcc_lo
	v_add_co_u32 v13, vcc_lo, s4, v13
	s_wait_alu 0xfffd
	v_add_co_ci_u32_e32 v14, vcc_lo, s5, v14, vcc_lo
	global_load_b128 v[8:11], v[8:9], off offset:1512
	v_lshlrev_b32_e32 v24, 2, v12
	global_load_b128 v[16:19], v[13:14], off offset:1512
	v_lshlrev_b64_e32 v[12:13], 2, v[24:25]
	v_lshlrev_b32_e32 v24, 2, v28
	s_delay_alu instid0(VALU_DEP_2) | instskip(SKIP_1) | instid1(VALU_DEP_3)
	v_add_co_u32 v12, vcc_lo, s4, v12
	s_wait_alu 0xfffd
	v_add_co_ci_u32_e32 v13, vcc_lo, s5, v13, vcc_lo
	s_delay_alu instid0(VALU_DEP_3)
	v_lshlrev_b64_e32 v[73:74], 2, v[24:25]
	global_load_b128 v[12:15], v[12:13], off offset:1512
	ds_load_u16 v77, v21 offset:1430
	ds_load_u16 v78, v21 offset:3740
	;; [unrolled: 1-line block ×28, first 2 shown]
	global_load_b128 v[69:72], v[26:27], off offset:1512
	v_add_co_u32 v26, vcc_lo, s4, v73
	s_wait_alu 0xfffd
	v_add_co_ci_u32_e32 v27, vcc_lo, s5, v74, vcc_lo
	ds_load_u16 v124, v21 offset:440
	ds_load_u16 v130, v21 offset:330
	global_load_b128 v[73:76], v[26:27], off offset:1512
	s_wait_loadcnt 0x6
	v_lshrrev_b32_e32 v100, 16, v4
	v_lshrrev_b32_e32 v101, 16, v5
	;; [unrolled: 1-line block ×4, first 2 shown]
	s_wait_dscnt 0x1d
	v_mul_f16_e32 v104, v4, v77
	s_wait_dscnt 0xe
	v_mul_f16_e32 v105, v5, v28
	v_mul_f16_e32 v106, v7, v78
	;; [unrolled: 1-line block ×4, first 2 shown]
	v_fmac_f16_e32 v104, v65, v100
	v_mul_f16_e32 v28, v100, v77
	v_mul_f16_e32 v77, v103, v78
	ds_load_u16 v100, v21 offset:660
	v_mul_f16_e32 v107, v6, v82
	v_fmac_f16_e32 v106, v68, v103
	v_fma_f16 v27, v67, v6, -v27
	v_fma_f16 v6, v65, v4, -v28
	;; [unrolled: 1-line block ×3, first 2 shown]
	ds_load_u16 v68, v21 offset:550
	v_fmac_f16_e32 v105, v66, v101
	v_fmac_f16_e32 v107, v67, v102
	s_wait_loadcnt 0x5
	v_lshrrev_b32_e32 v78, 16, v0
	v_lshrrev_b32_e32 v82, 16, v1
	;; [unrolled: 1-line block ×4, first 2 shown]
	s_wait_dscnt 0x9
	v_mul_f16_e32 v103, v0, v24
	v_mul_f16_e32 v108, v1, v89
	;; [unrolled: 1-line block ×4, first 2 shown]
	v_sub_f16_e32 v111, v104, v105
	v_sub_f16_e32 v112, v106, v107
	v_fma_f16 v26, v66, v5, -v26
	v_add_f16_e32 v4, v105, v107
	v_sub_f16_e32 v66, v104, v106
	v_sub_f16_e32 v5, v105, v104
	;; [unrolled: 1-line block ×3, first 2 shown]
	v_add_f16_e32 v28, v104, v106
	s_wait_dscnt 0x1
	v_add_f16_e32 v77, v104, v100
	v_fmac_f16_e32 v103, v61, v78
	v_fmac_f16_e32 v108, v62, v82
	;; [unrolled: 1-line block ×4, first 2 shown]
	v_mul_f16_e32 v82, v82, v89
	v_mul_f16_e32 v83, v101, v83
	;; [unrolled: 1-line block ×4, first 2 shown]
	s_wait_loadcnt 0x4
	v_lshrrev_b32_e32 v79, 16, v8
	v_lshrrev_b32_e32 v89, 16, v9
	;; [unrolled: 1-line block ×4, first 2 shown]
	v_mul_f16_e32 v104, v8, v95
	v_mul_f16_e32 v113, v9, v90
	;; [unrolled: 1-line block ×4, first 2 shown]
	v_sub_f16_e32 v67, v105, v107
	v_add_f16_e32 v111, v111, v112
	v_sub_f16_e32 v112, v26, v27
	v_sub_f16_e32 v116, v6, v65
	v_fma_f16 v4, -0.5, v4, v100
	v_sub_f16_e32 v117, v6, v26
	v_sub_f16_e32 v118, v65, v27
	v_add_f16_e32 v119, v26, v27
	v_add_f16_e32 v120, v5, v7
	v_fma_f16 v5, -0.5, v28, v100
	v_sub_f16_e32 v7, v26, v6
	v_sub_f16_e32 v28, v27, v65
	v_add_f16_e32 v100, v6, v65
	v_add_f16_e32 v77, v105, v77
	;; [unrolled: 1-line block ×3, first 2 shown]
	v_sub_f16_e32 v105, v103, v108
	v_sub_f16_e32 v121, v109, v110
	v_fma_f16 v62, v62, v1, -v82
	v_fma_f16 v63, v63, v2, -v83
	;; [unrolled: 1-line block ×4, first 2 shown]
	v_add_f16_e32 v64, v108, v110
	v_sub_f16_e32 v78, v103, v109
	v_sub_f16_e32 v83, v108, v103
	;; [unrolled: 1-line block ×3, first 2 shown]
	v_add_f16_e32 v123, v103, v109
	s_wait_dscnt 0x0
	v_add_f16_e32 v103, v103, v68
	v_fmac_f16_e32 v104, v54, v79
	v_fmac_f16_e32 v113, v55, v89
	v_fmac_f16_e32 v114, v59, v102
	v_fmac_f16_e32 v115, v56, v101
	v_mul_f16_e32 v89, v89, v90
	v_mul_f16_e32 v84, v101, v84
	;; [unrolled: 1-line block ×4, first 2 shown]
	s_wait_loadcnt 0x3
	v_lshrrev_b32_e32 v90, 16, v16
	v_lshrrev_b32_e32 v102, 16, v19
	v_mul_f16_e32 v126, v16, v96
	v_sub_f16_e32 v82, v108, v110
	v_lshrrev_b32_e32 v95, 16, v17
	v_mul_f16_e64 v128, v19, v81
	v_add_f16_e32 v117, v117, v118
	v_fma_f16 v2, -0.5, v119, v60
	v_fmamk_f16 v1, v112, 0xbb9c, v5
	v_add_f16_e32 v118, v7, v28
	v_fma_f16 v3, -0.5, v100, v60
	v_fmac_f16_e32 v5, 0x3b9c, v112
	v_add_f16_e32 v28, v107, v77
	v_add_f16_e32 v26, v6, v26
	;; [unrolled: 1-line block ×3, first 2 shown]
	v_sub_f16_e32 v77, v62, v63
	v_sub_f16_e32 v100, v24, v61
	v_fma_f16 v6, -0.5, v64, v68
	v_sub_f16_e32 v64, v24, v62
	v_add_f16_e32 v107, v62, v63
	v_add_f16_e32 v83, v83, v122
	v_fma_f16 v7, -0.5, v123, v68
	v_sub_f16_e32 v68, v62, v24
	v_add_f16_e32 v121, v24, v61
	v_add_f16_e32 v103, v108, v103
	;; [unrolled: 1-line block ×3, first 2 shown]
	v_sub_f16_e32 v108, v104, v113
	v_sub_f16_e32 v122, v114, v115
	v_fma_f16 v55, v55, v9, -v89
	v_fma_f16 v56, v56, v10, -v84
	;; [unrolled: 1-line block ×4, first 2 shown]
	v_fmac_f16_e32 v126, v49, v90
	v_mul_f16_e32 v90, v90, v96
	v_mul_f16_e32 v81, v102, v81
	v_lshrrev_b32_e32 v101, 16, v18
	v_mul_f16_e32 v125, v17, v91
	v_mul_f16_e32 v127, v18, v85
	v_fmamk_f16 v0, v116, 0x3b9c, v4
	v_fmac_f16_e32 v4, 0xbb9c, v116
	v_sub_f16_e32 v105, v61, v63
	v_sub_f16_e32 v80, v104, v114
	;; [unrolled: 1-line block ×3, first 2 shown]
	v_add_f16_e64 v129, v104, v114
	v_add_f16_e32 v104, v104, v124
	v_mul_f16_e32 v91, v95, v91
	v_fmac_f16_e32 v1, 0x38b4, v116
	v_fmamk_f16 v9, v67, 0x3b9c, v3
	v_fmac_f16_e32 v5, 0xb8b4, v116
	v_fmac_f16_e32 v3, 0xbb9c, v67
	v_add_f16_e32 v10, v106, v28
	v_add_f16_e32 v106, v26, v27
	v_fmamk_f16 v11, v100, 0x3b9c, v6
	v_fma_f16 v27, -0.5, v107, v52
	v_fmamk_f16 v26, v77, 0xbb9c, v7
	v_fma_f16 v28, -0.5, v121, v52
	v_fmac_f16_e32 v7, 0x3b9c, v77
	v_fmac_f16_e32 v6, 0xbb9c, v100
	v_add_f16_e32 v103, v110, v103
	v_add_f16_e32 v24, v24, v62
	;; [unrolled: 1-line block ×3, first 2 shown]
	v_sub_f16_e32 v107, v79, v59
	v_sub_f16_e32 v108, v79, v55
	;; [unrolled: 1-line block ×4, first 2 shown]
	v_add_f16_e32 v121, v79, v59
	v_add_f16_e32 v79, v47, v79
	v_fma_f16 v49, v49, v16, -v90
	v_fma_f16 v19, v48, v19, -v81
	v_fmac_f16_e32 v125, v50, v95
	v_fmac_f16_e32 v127, v51, v101
	v_fmac_f16_e64 v128, v48, v102
	v_mul_f16_e32 v85, v101, v85
	v_fmac_f16_e32 v0, 0x38b4, v112
	v_fmamk_f16 v8, v66, 0xbb9c, v2
	v_fmac_f16_e32 v4, 0xb8b4, v112
	v_fmac_f16_e32 v2, 0x3b9c, v66
	v_add_f16_e32 v64, v64, v105
	v_sub_f16_e32 v105, v55, v56
	v_add_f16_e32 v112, v55, v56
	v_add_f16_e32 v104, v113, v104
	v_fma_f16 v50, v50, v17, -v91
	v_fmac_f16_e32 v9, 0xb8b4, v66
	v_fmac_f16_e32 v3, 0x38b4, v66
	;; [unrolled: 1-line block ×6, first 2 shown]
	v_add_f16_e32 v24, v24, v63
	v_add_f16_e32 v66, v108, v110
	v_add_f16_e32 v55, v79, v55
	v_add_f16_e32 v110, v49, v19
	v_add_f16_e32 v54, v113, v115
	v_sub_f16_e32 v84, v113, v115
	v_sub_f16_e32 v113, v125, v126
	v_sub_f16_e64 v122, v127, v128
	v_fma_f16 v51, v51, v18, -v85
	v_sub_f16_e32 v81, v125, v127
	v_fmac_f16_e32 v0, 0x34f2, v111
	v_add_f16_e32 v16, v65, v106
	v_fmac_f16_e32 v4, 0x34f2, v111
	v_add_f16_e32 v65, v109, v103
	v_add_f16_e32 v103, v115, v104
	v_sub_f16_e32 v104, v49, v19
	v_sub_f16_e32 v108, v50, v49
	;; [unrolled: 1-line block ×3, first 2 shown]
	v_add_f16_e32 v49, v46, v49
	v_fmac_f16_e32 v11, 0x34f2, v60
	v_fmac_f16_e32 v26, 0x34f2, v83
	;; [unrolled: 1-line block ×4, first 2 shown]
	v_add_f16_e32 v60, v61, v24
	v_add_f16_e32 v24, v55, v56
	v_fma_f16 v83, -0.5, v110, v46
	v_sub_f16_e32 v119, v63, v61
	v_sub_f16_e32 v123, v115, v114
	v_sub_f16_e64 v85, v126, v128
	v_fmamk_f16 v17, v78, 0xbb9c, v27
	v_fmac_f16_e32 v27, 0x3b9c, v78
	v_add_f16_e32 v79, v113, v122
	v_sub_f16_e32 v106, v50, v51
	v_sub_f16_e32 v109, v51, v19
	v_add_f16_e32 v113, v50, v51
	v_add_f16_e32 v49, v50, v49
	;; [unrolled: 1-line block ×3, first 2 shown]
	v_fmamk_f16 v24, v81, 0x3b9c, v83
	v_fmac_f16_e32 v83, 0xbb9c, v81
	s_wait_loadcnt 0x2
	v_lshrrev_b32_e32 v95, 16, v12
	v_lshrrev_b32_e32 v96, 16, v13
	;; [unrolled: 1-line block ×4, first 2 shown]
	v_add_f16_e32 v68, v68, v119
	v_fma_f16 v52, -0.5, v54, v124
	v_add_f16_e32 v89, v89, v123
	v_fma_f16 v54, -0.5, v129, v124
	v_sub_f16_e32 v119, v56, v59
	v_sub_f16_e32 v90, v126, v125
	v_sub_f16_e64 v91, v128, v127
	v_add_f16_e32 v123, v125, v127
	ds_load_u16 v124, v21 offset:220
	v_fmac_f16_e32 v8, 0xb8b4, v67
	v_fmac_f16_e32 v2, 0x38b4, v67
	v_fma_f16 v67, -0.5, v112, v47
	v_fmac_f16_e32 v17, 0xb8b4, v82
	v_fmac_f16_e32 v27, 0x38b4, v82
	v_add_f16_e32 v56, v108, v109
	v_add_f16_e32 v49, v49, v51
	v_fmac_f16_e32 v24, 0xb8b4, v85
	v_fmac_f16_e32 v83, 0x38b4, v85
	v_mul_f16_e64 v131, v12, v97
	v_mul_f16_e64 v132, v13, v92
	;; [unrolled: 1-line block ×3, first 2 shown]
	v_add_f16_e64 v48, v126, v128
	v_fmamk_f16 v18, v82, 0x3b9c, v28
	v_fmac_f16_e32 v28, 0xbb9c, v82
	v_fma_f16 v47, -0.5, v121, v47
	v_add_f16_e32 v90, v90, v91
	v_fma_f16 v91, -0.5, v123, v130
	v_sub_f16_e32 v112, v19, v51
	v_fmamk_f16 v61, v80, 0xbb9c, v67
	v_fmac_f16_e32 v67, 0x3b9c, v80
	v_fmac_f16_e32 v17, 0x34f2, v64
	;; [unrolled: 1-line block ×3, first 2 shown]
	v_add_f16_e32 v19, v49, v19
	v_fmac_f16_e32 v24, 0x34f2, v56
	v_fmac_f16_e32 v83, 0x34f2, v56
	v_mul_f16_e32 v49, v14, v86
	v_mul_f16_e32 v51, v96, v92
	;; [unrolled: 1-line block ×5, first 2 shown]
	v_fmamk_f16 v77, v105, 0xbb9c, v54
	v_fmac_f16_e32 v54, 0x3b9c, v105
	v_fma_f16 v48, -0.5, v48, v130
	v_fmac_f16_e32 v18, 0xb8b4, v78
	v_fmac_f16_e32 v28, 0x38b4, v78
	v_fmamk_f16 v78, v84, 0x3b9c, v47
	v_fmac_f16_e32 v47, 0xbb9c, v84
	v_add_f16_e32 v82, v114, v103
	v_fmamk_f16 v103, v104, 0xbb9c, v91
	v_fmac_f16_e32 v91, 0x3b9c, v104
	v_fmac_f16_e32 v61, 0xb8b4, v84
	;; [unrolled: 1-line block ×3, first 2 shown]
	v_fmac_f16_e64 v131, v44, v95
	v_fmac_f16_e64 v132, v45, v96
	;; [unrolled: 1-line block ×3, first 2 shown]
	v_fmac_f16_e32 v49, v42, v101
	v_fma_f16 v13, v45, v13, -v51
	v_fma_f16 v14, v42, v14, -v56
	;; [unrolled: 1-line block ×4, first 2 shown]
	ds_load_u16 v53, v21 offset:110
	v_fmac_f16_e32 v77, 0x38b4, v107
	v_fmac_f16_e32 v54, 0xb8b4, v107
	v_fmamk_f16 v55, v106, 0xbb9c, v48
	v_fma_f16 v46, -0.5, v113, v46
	v_fmac_f16_e32 v48, 0x3b9c, v106
	v_fmac_f16_e32 v18, 0x34f2, v68
	;; [unrolled: 1-line block ×9, first 2 shown]
	v_sub_f16_e64 v42, v131, v132
	v_add_f16_e64 v43, v132, v49
	v_sub_f16_e64 v44, v133, v49
	v_add_f16_e32 v45, v13, v14
	v_sub_f16_e32 v66, v12, v13
	v_sub_f16_e32 v68, v15, v14
	v_add_f16_e64 v80, v131, v133
	v_fmac_f16_e32 v77, 0x34f2, v89
	v_fmac_f16_e32 v54, 0x34f2, v89
	;; [unrolled: 1-line block ×3, first 2 shown]
	v_fmamk_f16 v59, v85, 0x3b9c, v46
	v_fmac_f16_e32 v48, 0xb8b4, v104
	v_fmac_f16_e32 v46, 0xbb9c, v85
	;; [unrolled: 1-line block ×4, first 2 shown]
	v_sub_f16_e32 v51, v12, v15
	s_wait_dscnt 0x1
	v_fma_f16 v43, -0.5, v43, v124
	v_add_f16_e32 v42, v42, v44
	v_fma_f16 v44, -0.5, v45, v40
	v_sub_f16_e64 v45, v131, v133
	v_sub_f16_e32 v56, v13, v14
	v_add_f16_e32 v84, v12, v15
	v_add_f16_e32 v66, v66, v68
	v_fma_f16 v68, -0.5, v80, v124
	v_sub_f16_e64 v80, v132, v131
	v_sub_f16_e64 v85, v49, v133
	v_sub_f16_e32 v89, v13, v12
	v_sub_f16_e32 v90, v14, v15
	v_fmac_f16_e32 v55, 0x34f2, v79
	v_fmac_f16_e32 v59, 0x38b4, v81
	;; [unrolled: 1-line block ×4, first 2 shown]
	v_fmamk_f16 v64, v51, 0x3b9c, v43
	v_fmamk_f16 v79, v45, 0xbb9c, v44
	v_sub_f16_e64 v81, v132, v49
	v_fma_f16 v84, -0.5, v84, v40
	v_fmamk_f16 v86, v56, 0xbb9c, v68
	v_add_f16_e32 v80, v80, v85
	v_fmac_f16_e32 v68, 0x3b9c, v56
	v_add_f16_e32 v85, v89, v90
	v_add_f16_e64 v89, v131, v124
	v_fmac_f16_e32 v43, 0xbb9c, v51
	v_fmac_f16_e32 v44, 0x3b9c, v45
	v_add_f16_e32 v12, v40, v12
	v_fmac_f16_e32 v64, 0x38b4, v56
	v_fmac_f16_e32 v79, 0xb8b4, v81
	v_fmamk_f16 v92, v81, 0x3b9c, v84
	v_fmac_f16_e32 v86, 0x38b4, v51
	v_fmac_f16_e32 v68, 0xb8b4, v51
	;; [unrolled: 1-line block ×3, first 2 shown]
	v_add_f16_e64 v51, v132, v89
	v_fmac_f16_e32 v43, 0xb8b4, v56
	v_fmac_f16_e32 v44, 0x38b4, v81
	v_add_f16_e32 v12, v12, v13
	v_fmac_f16_e32 v92, 0xb8b4, v45
	v_fmac_f16_e32 v64, 0x34f2, v42
	;; [unrolled: 1-line block ×4, first 2 shown]
	v_add_f16_e32 v40, v49, v51
	v_fmac_f16_e32 v43, 0x34f2, v42
	v_fmac_f16_e32 v44, 0x34f2, v66
	v_add_f16_e32 v12, v12, v14
	s_wait_loadcnt 0x0
	v_lshrrev_b32_e32 v13, 16, v73
	v_mul_f16_e32 v14, v73, v98
	v_lshrrev_b32_e32 v42, 16, v74
	v_mul_f16_e32 v45, v74, v93
	v_lshrrev_b32_e32 v49, 16, v75
	v_lshrrev_b32_e32 v51, 16, v76
	v_mul_f16_e32 v56, v75, v87
	v_mul_f16_e32 v66, v76, v57
	v_fmac_f16_e32 v14, v37, v13
	v_fmac_f16_e32 v45, v38, v42
	v_mul_f16_e32 v13, v13, v98
	v_mul_f16_e32 v57, v51, v57
	v_fmac_f16_e32 v56, v39, v49
	v_mul_f16_e32 v42, v42, v93
	v_mul_f16_e32 v49, v49, v87
	v_fmac_f16_e32 v66, v41, v51
	v_fma_f16 v13, v37, v73, -v13
	v_fma_f16 v37, v41, v76, -v57
	;; [unrolled: 1-line block ×4, first 2 shown]
	v_sub_f16_e32 v49, v14, v45
	v_sub_f16_e32 v57, v66, v56
	v_fmac_f16_e32 v86, 0x34f2, v80
	v_fmac_f16_e32 v92, 0x34f2, v85
	;; [unrolled: 1-line block ×4, first 2 shown]
	v_add_f16_e32 v41, v45, v56
	v_sub_f16_e32 v42, v13, v37
	v_add_f16_e32 v49, v49, v57
	v_sub_f16_e32 v57, v13, v38
	v_sub_f16_e32 v75, v37, v39
	v_add_f16_e32 v80, v14, v66
	v_add_f16_e32 v85, v13, v37
	v_sub_f16_e32 v90, v38, v13
	v_add_f16_e32 v13, v36, v13
	s_wait_dscnt 0x0
	v_fma_f16 v41, -0.5, v41, v53
	v_add_f16_e32 v51, v38, v39
	v_sub_f16_e32 v73, v38, v39
	v_sub_f16_e32 v81, v45, v56
	v_add_f16_e32 v57, v57, v75
	v_fma_f16 v75, -0.5, v80, v53
	v_fma_f16 v85, -0.5, v85, v36
	v_add_f16_e32 v13, v13, v38
	ds_load_u16 v21, v21
	v_fmamk_f16 v74, v42, 0x3b9c, v41
	v_add_f16_e32 v15, v15, v12
	v_fma_f16 v51, -0.5, v51, v36
	v_sub_f16_e32 v12, v14, v66
	v_sub_f16_e32 v80, v45, v14
	v_fmamk_f16 v89, v73, 0xbb9c, v75
	v_fmamk_f16 v95, v81, 0x3b9c, v85
	v_fmac_f16_e32 v75, 0x3b9c, v73
	v_add_f16_e32 v14, v14, v53
	v_fmac_f16_e32 v85, 0xbb9c, v81
	v_fmac_f16_e32 v41, 0xbb9c, v42
	v_add_f16_e32 v13, v13, v39
	v_fmac_f16_e32 v74, 0x38b4, v73
	v_fmamk_f16 v76, v12, 0xbb9c, v51
	v_sub_f16_e32 v93, v39, v37
	v_fmac_f16_e32 v89, 0x38b4, v42
	v_fmac_f16_e32 v95, 0xb8b4, v12
	;; [unrolled: 1-line block ×3, first 2 shown]
	v_add_f16_e32 v14, v45, v14
	v_fmac_f16_e32 v85, 0x38b4, v12
	v_fmac_f16_e32 v41, 0xb8b4, v73
	;; [unrolled: 1-line block ×3, first 2 shown]
	v_add_f16_e32 v36, v37, v13
	v_lshrrev_b32_e32 v12, 16, v69
	v_mul_f16_e32 v13, v69, v99
	v_lshrrev_b32_e32 v37, 16, v70
	v_mul_f16_e32 v38, v70, v94
	v_lshrrev_b32_e32 v39, 16, v71
	v_lshrrev_b32_e32 v42, 16, v72
	v_mul_f16_e32 v45, v71, v88
	v_fmac_f16_e32 v74, 0x34f2, v49
	v_fmac_f16_e32 v41, 0x34f2, v49
	;; [unrolled: 1-line block ×4, first 2 shown]
	v_mul_f16_e32 v49, v72, v58
	v_mul_f16_e32 v12, v12, v99
	;; [unrolled: 1-line block ×3, first 2 shown]
	v_fmac_f16_e32 v45, v34, v39
	v_mul_f16_e32 v37, v37, v94
	v_mul_f16_e32 v39, v39, v88
	v_fma_f16 v12, v32, v69, -v12
	v_fma_f16 v32, v35, v72, -v53
	v_add_f16_e32 v53, v38, v45
	v_fmac_f16_e32 v49, v35, v42
	v_add_f16_e32 v14, v56, v14
	v_fma_f16 v33, v33, v70, -v37
	v_fma_f16 v34, v34, v71, -v39
	s_wait_dscnt 0x0
	v_fma_f16 v37, -0.5, v53, v21
	v_sub_f16_e32 v39, v13, v38
	v_sub_f16_e32 v53, v49, v45
	v_fmac_f16_e32 v76, 0xb8b4, v81
	v_sub_f16_e32 v87, v56, v66
	v_add_f16_e32 v14, v66, v14
	v_fmac_f16_e32 v51, 0x38b4, v81
	v_add_f16_e32 v39, v39, v53
	v_sub_f16_e32 v53, v12, v33
	v_sub_f16_e32 v66, v32, v34
	v_add_f16_e32 v70, v13, v49
	v_add_f16_e32 v42, v33, v34
	v_fmac_f16_e32 v76, 0x34f2, v57
	v_fmac_f16_e32 v51, 0x34f2, v57
	v_sub_f16_e32 v57, v13, v49
	v_add_f16_e32 v53, v53, v66
	v_fma_f16 v66, -0.5, v70, v21
	v_sub_f16_e32 v70, v38, v13
	v_add_f16_e32 v13, v13, v21
	v_add_f16_e32 v72, v12, v32
	v_sub_f16_e32 v35, v12, v32
	v_fma_f16 v42, -0.5, v42, v31
	v_sub_f16_e32 v81, v33, v12
	v_add_f16_e32 v13, v38, v13
	v_add_f16_e32 v12, v31, v12
	;; [unrolled: 1-line block ×4, first 2 shown]
	v_sub_f16_e32 v56, v33, v34
	v_sub_f16_e32 v71, v38, v45
	v_fma_f16 v72, -0.5, v72, v31
	v_fmamk_f16 v58, v35, 0x3b9c, v37
	v_fmamk_f16 v69, v57, 0xbb9c, v42
	v_fmac_f16_e32 v37, 0xbb9c, v35
	v_fmac_f16_e32 v42, 0x3b9c, v57
	v_add_f16_e32 v13, v45, v13
	v_add_f16_e32 v12, v12, v33
	v_mov_b32_e32 v21, v25
	v_fmac_f16_e32 v89, 0x34f2, v80
	v_fmac_f16_e32 v95, 0x34f2, v87
	;; [unrolled: 1-line block ×4, first 2 shown]
	v_sub_f16_e32 v73, v45, v49
	v_fmamk_f16 v80, v56, 0xbb9c, v66
	v_sub_f16_e32 v87, v34, v32
	v_fmamk_f16 v88, v71, 0x3b9c, v72
	v_fmac_f16_e32 v37, 0xb8b4, v56
	v_fmac_f16_e32 v42, 0x38b4, v71
	v_add_f16_e32 v31, v49, v13
	v_add_f16_e32 v33, v12, v34
	v_lshlrev_b64_e32 v[12:13], 2, v[20:21]
	v_add_f16_e32 v70, v70, v73
	v_fmac_f16_e32 v80, 0x38b4, v35
	v_add_f16_e32 v73, v81, v87
	v_fmac_f16_e32 v88, 0xb8b4, v57
	v_add_co_u32 v20, vcc_lo, s8, v22
	v_fmac_f16_e32 v37, 0x34f2, v39
	v_fmac_f16_e32 v42, 0x34f2, v53
	s_wait_alu 0xfffd
	v_add_co_ci_u32_e32 v21, vcc_lo, s9, v23, vcc_lo
	v_fmamk_f16 v63, v107, 0x3b9c, v52
	v_fmac_f16_e32 v52, 0xbb9c, v107
	v_fmac_f16_e32 v66, 0x3b9c, v56
	v_fmac_f16_e32 v72, 0xbb9c, v71
	v_add_f16_e64 v40, v133, v40
	v_fmac_f16_e32 v80, 0x34f2, v70
	v_fmac_f16_e32 v88, 0x34f2, v73
	v_add_co_u32 v12, vcc_lo, v20, v12
	s_wait_alu 0xfffd
	v_add_co_ci_u32_e32 v13, vcc_lo, v21, v13, vcc_lo
	v_pack_b32_f16 v21, v42, v37
	v_fmac_f16_e32 v63, 0x38b4, v105
	v_fmac_f16_e32 v52, 0xb8b4, v105
	v_add_f16_e32 v105, v111, v112
	v_fmac_f16_e32 v66, 0xb8b4, v35
	v_fmac_f16_e32 v72, 0x38b4, v57
	v_add_f16_e32 v22, v32, v33
	v_pack_b32_f16 v32, v36, v14
	v_pack_b32_f16 v14, v51, v41
	;; [unrolled: 1-line block ×4, first 2 shown]
	v_fmac_f16_e32 v58, 0x38b4, v56
	v_fmac_f16_e32 v69, 0xb8b4, v71
	v_pack_b32_f16 v23, v88, v80
	v_pack_b32_f16 v34, v95, v89
	s_clause 0x2
	global_store_b32 v[12:13], v21, off offset:1540
	global_store_b32 v[12:13], v14, off offset:1760
	global_store_b32 v[12:13], v15, off offset:1980
	v_pack_b32_f16 v14, v92, v86
	v_fmac_f16_e32 v59, 0x34f2, v105
	v_fmac_f16_e32 v66, 0x34f2, v70
	;; [unrolled: 1-line block ×5, first 2 shown]
	s_clause 0x2
	global_store_b32 v[12:13], v23, off offset:4620
	global_store_b32 v[12:13], v34, off offset:4840
	;; [unrolled: 1-line block ×3, first 2 shown]
	v_lshrrev_b32_e32 v14, 7, v30
	v_fmac_f16_e32 v46, 0x34f2, v105
	v_pack_b32_f16 v20, v22, v31
	v_pack_b32_f16 v22, v72, v66
	;; [unrolled: 1-line block ×7, first 2 shown]
	v_mul_u32_u24_e32 v24, 0x604, v14
	v_pack_b32_f16 v35, v76, v74
	v_pack_b32_f16 v30, v83, v48
	;; [unrolled: 1-line block ×3, first 2 shown]
	s_clause 0x5
	global_store_b32 v[12:13], v37, off offset:2200
	global_store_b32 v[12:13], v22, off offset:3080
	;; [unrolled: 1-line block ×6, first 2 shown]
	v_pack_b32_f16 v21, v46, v91
	v_add_f16_e32 v100, v116, v119
	v_lshlrev_b64_e32 v[14:15], 2, v[24:25]
	s_clause 0x3
	global_store_b32 v[12:13], v31, off offset:6160
	global_store_b32 v[12:13], v35, off offset:6380
	;; [unrolled: 1-line block ×4, first 2 shown]
	v_mul_hi_u32 v21, 0x551c979b, v29
	v_fmac_f16_e32 v52, 0x34f2, v62
	v_fmac_f16_e32 v47, 0x34f2, v100
	;; [unrolled: 1-line block ×3, first 2 shown]
	v_add_co_u32 v14, vcc_lo, v12, v14
	v_fmac_f16_e32 v63, 0x34f2, v62
	v_add_f16_e64 v126, v126, v130
	s_wait_alu 0xfffd
	v_add_co_ci_u32_e32 v15, vcc_lo, v13, v15, vcc_lo
	v_pack_b32_f16 v22, v50, v82
	v_lshrrev_b32_e32 v21, 7, v21
	v_pack_b32_f16 v23, v67, v52
	v_pack_b32_f16 v24, v47, v54
	;; [unrolled: 1-line block ×4, first 2 shown]
	v_add_f16_e32 v115, v125, v126
	s_clause 0x4
	global_store_b32 v[14:15], v22, off offset:880
	global_store_b32 v[14:15], v23, off offset:2420
	;; [unrolled: 1-line block ×5, first 2 shown]
	v_mul_u32_u24_e32 v24, 0x604, v21
	v_pack_b32_f16 v15, v27, v6
	v_pack_b32_f16 v21, v28, v7
	v_add_f16_e32 v107, v127, v115
	v_fmac_f16_e32 v2, 0x34f2, v117
	v_lshlrev_b64_e32 v[6:7], 2, v[24:25]
	v_fmac_f16_e32 v5, 0x34f2, v120
	v_fmac_f16_e32 v3, 0x34f2, v118
	v_add_f16_e64 v62, v128, v107
	v_fmac_f16_e32 v1, 0x34f2, v120
	v_fmac_f16_e32 v9, 0x34f2, v118
	v_add_co_u32 v6, vcc_lo, v12, v6
	v_fmac_f16_e32 v8, 0x34f2, v117
	v_pack_b32_f16 v11, v17, v11
	s_wait_alu 0xfffd
	v_add_co_ci_u32_e32 v7, vcc_lo, v13, v7, vcc_lo
	v_pack_b32_f16 v10, v16, v10
	v_pack_b32_f16 v2, v2, v4
	;; [unrolled: 1-line block ×7, first 2 shown]
	s_clause 0x7
	global_store_b32 v[12:13], v20, off
	global_store_b32 v[12:13], v32, off offset:220
	global_store_b32 v[12:13], v36, off offset:440
	;; [unrolled: 1-line block ×7, first 2 shown]
	v_pack_b32_f16 v0, v8, v0
	s_clause 0x5
	global_store_b32 v[12:13], v11, off offset:7260
	global_store_b32 v[6:7], v10, off offset:1320
	;; [unrolled: 1-line block ×6, first 2 shown]
.LBB0_21:
	s_nop 0
	s_sendmsg sendmsg(MSG_DEALLOC_VGPRS)
	s_endpgm
	.section	.rodata,"a",@progbits
	.p2align	6, 0x0
	.amdhsa_kernel fft_rtc_fwd_len1925_factors_7_11_5_5_wgs_55_tpt_55_halfLds_half_ip_CI_unitstride_sbrr_dirReg
		.amdhsa_group_segment_fixed_size 0
		.amdhsa_private_segment_fixed_size 0
		.amdhsa_kernarg_size 88
		.amdhsa_user_sgpr_count 2
		.amdhsa_user_sgpr_dispatch_ptr 0
		.amdhsa_user_sgpr_queue_ptr 0
		.amdhsa_user_sgpr_kernarg_segment_ptr 1
		.amdhsa_user_sgpr_dispatch_id 0
		.amdhsa_user_sgpr_private_segment_size 0
		.amdhsa_wavefront_size32 1
		.amdhsa_uses_dynamic_stack 0
		.amdhsa_enable_private_segment 0
		.amdhsa_system_sgpr_workgroup_id_x 1
		.amdhsa_system_sgpr_workgroup_id_y 0
		.amdhsa_system_sgpr_workgroup_id_z 0
		.amdhsa_system_sgpr_workgroup_info 0
		.amdhsa_system_vgpr_workitem_id 0
		.amdhsa_next_free_vgpr 184
		.amdhsa_next_free_sgpr 32
		.amdhsa_reserve_vcc 1
		.amdhsa_float_round_mode_32 0
		.amdhsa_float_round_mode_16_64 0
		.amdhsa_float_denorm_mode_32 3
		.amdhsa_float_denorm_mode_16_64 3
		.amdhsa_fp16_overflow 0
		.amdhsa_workgroup_processor_mode 1
		.amdhsa_memory_ordered 1
		.amdhsa_forward_progress 0
		.amdhsa_round_robin_scheduling 0
		.amdhsa_exception_fp_ieee_invalid_op 0
		.amdhsa_exception_fp_denorm_src 0
		.amdhsa_exception_fp_ieee_div_zero 0
		.amdhsa_exception_fp_ieee_overflow 0
		.amdhsa_exception_fp_ieee_underflow 0
		.amdhsa_exception_fp_ieee_inexact 0
		.amdhsa_exception_int_div_zero 0
	.end_amdhsa_kernel
	.text
.Lfunc_end0:
	.size	fft_rtc_fwd_len1925_factors_7_11_5_5_wgs_55_tpt_55_halfLds_half_ip_CI_unitstride_sbrr_dirReg, .Lfunc_end0-fft_rtc_fwd_len1925_factors_7_11_5_5_wgs_55_tpt_55_halfLds_half_ip_CI_unitstride_sbrr_dirReg
                                        ; -- End function
	.section	.AMDGPU.csdata,"",@progbits
; Kernel info:
; codeLenInByte = 27932
; NumSgprs: 34
; NumVgprs: 184
; ScratchSize: 0
; MemoryBound: 0
; FloatMode: 240
; IeeeMode: 1
; LDSByteSize: 0 bytes/workgroup (compile time only)
; SGPRBlocks: 4
; VGPRBlocks: 22
; NumSGPRsForWavesPerEU: 34
; NumVGPRsForWavesPerEU: 184
; Occupancy: 8
; WaveLimiterHint : 1
; COMPUTE_PGM_RSRC2:SCRATCH_EN: 0
; COMPUTE_PGM_RSRC2:USER_SGPR: 2
; COMPUTE_PGM_RSRC2:TRAP_HANDLER: 0
; COMPUTE_PGM_RSRC2:TGID_X_EN: 1
; COMPUTE_PGM_RSRC2:TGID_Y_EN: 0
; COMPUTE_PGM_RSRC2:TGID_Z_EN: 0
; COMPUTE_PGM_RSRC2:TIDIG_COMP_CNT: 0
	.text
	.p2alignl 7, 3214868480
	.fill 96, 4, 3214868480
	.type	__hip_cuid_6aa52052b0cf1f27,@object ; @__hip_cuid_6aa52052b0cf1f27
	.section	.bss,"aw",@nobits
	.globl	__hip_cuid_6aa52052b0cf1f27
__hip_cuid_6aa52052b0cf1f27:
	.byte	0                               ; 0x0
	.size	__hip_cuid_6aa52052b0cf1f27, 1

	.ident	"AMD clang version 19.0.0git (https://github.com/RadeonOpenCompute/llvm-project roc-6.4.0 25133 c7fe45cf4b819c5991fe208aaa96edf142730f1d)"
	.section	".note.GNU-stack","",@progbits
	.addrsig
	.addrsig_sym __hip_cuid_6aa52052b0cf1f27
	.amdgpu_metadata
---
amdhsa.kernels:
  - .args:
      - .actual_access:  read_only
        .address_space:  global
        .offset:         0
        .size:           8
        .value_kind:     global_buffer
      - .offset:         8
        .size:           8
        .value_kind:     by_value
      - .actual_access:  read_only
        .address_space:  global
        .offset:         16
        .size:           8
        .value_kind:     global_buffer
      - .actual_access:  read_only
        .address_space:  global
        .offset:         24
        .size:           8
        .value_kind:     global_buffer
      - .offset:         32
        .size:           8
        .value_kind:     by_value
      - .actual_access:  read_only
        .address_space:  global
        .offset:         40
        .size:           8
        .value_kind:     global_buffer
      - .actual_access:  read_only
        .address_space:  global
        .offset:         48
        .size:           8
        .value_kind:     global_buffer
      - .offset:         56
        .size:           4
        .value_kind:     by_value
      - .actual_access:  read_only
        .address_space:  global
        .offset:         64
        .size:           8
        .value_kind:     global_buffer
      - .actual_access:  read_only
        .address_space:  global
        .offset:         72
        .size:           8
        .value_kind:     global_buffer
      - .address_space:  global
        .offset:         80
        .size:           8
        .value_kind:     global_buffer
    .group_segment_fixed_size: 0
    .kernarg_segment_align: 8
    .kernarg_segment_size: 88
    .language:       OpenCL C
    .language_version:
      - 2
      - 0
    .max_flat_workgroup_size: 55
    .name:           fft_rtc_fwd_len1925_factors_7_11_5_5_wgs_55_tpt_55_halfLds_half_ip_CI_unitstride_sbrr_dirReg
    .private_segment_fixed_size: 0
    .sgpr_count:     34
    .sgpr_spill_count: 0
    .symbol:         fft_rtc_fwd_len1925_factors_7_11_5_5_wgs_55_tpt_55_halfLds_half_ip_CI_unitstride_sbrr_dirReg.kd
    .uniform_work_group_size: 1
    .uses_dynamic_stack: false
    .vgpr_count:     184
    .vgpr_spill_count: 0
    .wavefront_size: 32
    .workgroup_processor_mode: 1
amdhsa.target:   amdgcn-amd-amdhsa--gfx1201
amdhsa.version:
  - 1
  - 2
...

	.end_amdgpu_metadata
